;; amdgpu-corpus repo=ROCm/aiter kind=harvested arch=n/a opt=n/a

/root/src/amdgpu-assembly/repos/ROCm__aiter/hsa/gfx942/fmha_v3_fwd/MI300/fwd_hd128_bf16_rtz.co:	file format elf64-amdgpu

Disassembly of section .text:

0000000000003300 <_ZN5aiter23fmha_fwd_hd128_bf16_rtzE>:
	s_and_b32 s1, s1, 0xffff                                   // 000000003300: 8601FF01 0000FFFF
	s_load_dwordx2 s[20:21], s[0:1], 0x0                       // 000000003308: C0060500 00000000
	s_load_dwordx2 s[8:9], s[0:1], 0x10                        // 000000003310: C0060200 00000010
	s_load_dwordx2 s[12:13], s[0:1], 0x20                      // 000000003318: C0060300 00000020
	s_load_dwordx2 s[16:17], s[0:1], 0x30                      // 000000003320: C0060400 00000030
	s_load_dwordx2 s[24:25], s[0:1], 0x40                      // 000000003328: C0060600 00000040
	s_load_dword s28, s[0:1], 0x50                             // 000000003330: C0020700 00000050
	s_load_dword s30, s[0:1], 0x60                             // 000000003338: C0020780 00000060
	s_load_dword s62, s[0:1], 0x70                             // 000000003340: C0020F80 00000070
	s_load_dword s31, s[0:1], 0x80                             // 000000003348: C00207C0 00000080
	s_load_dword s32, s[0:1], 0x90                             // 000000003350: C0020800 00000090
	s_load_dword s33, s[0:1], 0xa0                             // 000000003358: C0020840 000000A0
	s_load_dword s46, s[0:1], 0xb0                             // 000000003360: C0020B80 000000B0
	s_load_dword s61, s[0:1], 0xc0                             // 000000003368: C0020F40 000000C0
	s_load_dword s47, s[0:1], 0xd0                             // 000000003370: C0020BC0 000000D0
	s_load_dword s48, s[0:1], 0xe0                             // 000000003378: C0020C00 000000E0
	s_load_dword s34, s[0:1], 0xf0                             // 000000003380: C0020880 000000F0
	s_load_dword s37, s[0:1], 0x100                            // 000000003388: C0020940 00000100
	s_load_dword s7, s[0:1], 0x110                             // 000000003390: C00201C0 00000110
	s_load_dword s96, s[0:1], 0x140                            // 000000003398: C0021800 00000140
	s_load_dword s80, s[0:1], 0x150                            // 0000000033A0: C0021400 00000150
	s_load_dword s81, s[0:1], 0x160                            // 0000000033A8: C0021440 00000160
	s_load_dword s82, s[0:1], 0x170                            // 0000000033B0: C0021480 00000170
	s_load_dword s83, s[0:1], 0x180                            // 0000000033B8: C00214C0 00000180
	s_load_dword s84, s[0:1], 0x190                            // 0000000033C0: C0021500 00000190
	s_load_dword s85, s[0:1], 0x1a0                            // 0000000033C8: C0021540 000001A0
	s_load_dwordx2 s[76:77], s[0:1], 0x1b0                     // 0000000033D0: C0061300 000001B0
	s_load_dwordx2 s[78:79], s[0:1], 0x1c0                     // 0000000033D8: C0061380 000001C0
	s_load_dword s86, s[0:1], 0x1d0                            // 0000000033E0: C0021580 000001D0
	s_load_dwordx2 s[88:89], s[0:1], 0x1e0                     // 0000000033E8: C0061600 000001E0
	s_load_dwordx2 s[90:91], s[0:1], 0x1f0                     // 0000000033F0: C0061680 000001F0
	v_lshrrev_b32_e32 v1, 10, v0                               // 0000000033F8: 2002008A
	v_lshrrev_b32_e32 v2, 10, v1                               // 0000000033FC: 2004028A
	v_and_b32_e32 v2, 0x3ff, v2                                // 000000003400: 260404FF 000003FF
	v_and_b32_e32 v1, 0x3ff, v1                                // 000000003408: 260202FF 000003FF
	v_and_b32_e32 v0, 0x3ff, v0                                // 000000003410: 260000FF 000003FF
	v_lshrrev_b32_e32 v3, 6, v0                                // 000000003418: 20060086
	v_and_b32_e32 v0, 63, v0                                   // 00000000341C: 260000BF
	s_mov_b32 s2, s2                                           // 000000003420: BE820002
	s_mov_b32 s3, s3                                           // 000000003424: BE830003
	s_mov_b32 s4, s4                                           // 000000003428: BE840004
	v_readfirstlane_b32 s5, v3                                 // 00000000342C: 7E0A0503
	s_waitcnt lgkmcnt(0)                                       // 000000003430: BF8CC07F
	s_mul_i32 s40, s30, s62                                    // 000000003434: 92283E1E
	s_mov_b32 s10, s40                                         // 000000003438: BE8A0028
	s_mul_i32 s40, s30, s83                                    // 00000000343C: 9228531E
	s_mov_b32 s22, s40                                         // 000000003440: BE960028
	s_mul_i32 s40, s7, s61                                     // 000000003444: 92283D07
	s_mov_b32 s14, s40                                         // 000000003448: BE8E0028
	s_mul_i32 s40, s7, s80                                     // 00000000344C: 92285007
	s_mov_b32 s18, s40                                         // 000000003450: BE920028
	s_mul_i32 s40, s30, 4                                      // 000000003454: 9228841E
	s_mov_b32 s26, s40                                         // 000000003458: BE9A0028
	s_mov_b32 s23, 0x20000                                     // 00000000345C: BE9700FF 00020000
	s_mov_b32 s11, 0x20000                                     // 000000003464: BE8B00FF 00020000
	s_mov_b32 s15, 0x20000                                     // 00000000346C: BE8F00FF 00020000
	s_mov_b32 s19, 0x20000                                     // 000000003474: BE9300FF 00020000
	s_mov_b32 s27, 0x20000                                     // 00000000347C: BE9B00FF 00020000
	s_and_b32 s21, s21, 0xffff                                 // 000000003484: 8615FF15 0000FFFF
	s_and_b32 s9, s9, 0xffff                                   // 00000000348C: 8609FF09 0000FFFF
	s_and_b32 s13, s13, 0xffff                                 // 000000003494: 860DFF0D 0000FFFF
	s_and_b32 s17, s17, 0xffff                                 // 00000000349C: 8611FF11 0000FFFF
	s_and_b32 s25, s25, 0xffff                                 // 0000000034A4: 8619FF19 0000FFFF
	s_nop 0                                                    // 0000000034AC: BF800000
	s_nop 0                                                    // 0000000034B0: BF800000
	s_mov_b32 s64, s3                                          // 0000000034B4: BEC00003
	s_mov_b32 s65, s46                                         // 0000000034B8: BEC1002E
	v_cvt_f32_u32_e32 v16, s65                                 // 0000000034BC: 7E200C41
	s_sub_i32 s40, 0, s65                                      // 0000000034C0: 81A84180
	v_rcp_iflag_f32_e32 v16, v16                               // 0000000034C4: 7E204710
	s_nop 0                                                    // 0000000034C8: BF800000
	v_mul_f32_e32 v16, 0x4f7ffffe, v16                         // 0000000034CC: 0A2020FF 4F7FFFFE
	v_cvt_u32_f32_e32 v16, v16                                 // 0000000034D4: 7E200F10
	v_mul_lo_u32 v17, s40, v16                                 // 0000000034D8: D2850011 00022028
	v_mul_hi_u32 v17, v16, v17                                 // 0000000034E0: D2860011 00022310
	v_add_u32_e32 v16, v16, v17                                // 0000000034E8: 68202310
	v_mul_hi_u32 v16, s64, v16                                 // 0000000034EC: D2860010 00022040
	v_mul_lo_u32 v17, v16, s65                                 // 0000000034F4: D2850011 00008310
	v_sub_u32_e32 v19, s64, v17                                // 0000000034FC: 6A262240
	v_add_u32_e32 v18, 1, v16                                  // 000000003500: 68242081
	v_cmp_le_u32_e32 vcc, s65, v19                             // 000000003504: 7D962641
	v_subrev_u32_e32 v17, s65, v19                             // 000000003508: 6C222641
	s_nop 0                                                    // 00000000350C: BF800000
	v_cndmask_b32_e32 v16, v16, v18, vcc                       // 000000003510: 00202510
	v_cndmask_b32_e32 v19, v19, v17, vcc                       // 000000003514: 00262313
	v_add_u32_e32 v17, 1, v16                                  // 000000003518: 68222081
	v_cmp_le_u32_e32 vcc, s65, v19                             // 00000000351C: 7D962641
	s_nop 1                                                    // 000000003520: BF800001
	v_cndmask_b32_e32 v19, v16, v17, vcc                       // 000000003524: 00262310
	s_nop 3                                                    // 000000003528: BF800003
	v_readfirstlane_b32 s66, v19                               // 00000000352C: 7E840513
	s_nop 3                                                    // 000000003530: BF800003
	s_mov_b32 s49, 0x7060302                                   // 000000003534: BEB100FF 07060302
	s_mov_b32 s50, 0x5040100                                   // 00000000353C: BEB200FF 05040100
	v_mov_b32_e32 v41, 0xffff0000                              // 000000003544: 7E5202FF FFFF0000
	v_mov_b32_e32 v42, 0x7fff0000                              // 00000000354C: 7E5402FF 7FFF0000
	v_mov_b32_e32 v43, 0x7fff                                  // 000000003554: 7E5602FF 00007FFF
	v_lshrrev_b32_e32 v16, 5, v0                               // 00000000355C: 20200085
	v_sub_u32_e32 v16, 1, v16                                  // 000000003560: 6A202081
	v_mul_i32_i24_e32 v32, 0x80, v16                           // 000000003564: 0C4020FF 00000080
	v_and_b32_e32 v16, 31, v0                                  // 00000000356C: 2620009F
	v_mul_i32_i24_e32 v16, 4, v16                              // 000000003570: 0C202084
	v_add_u32_e32 v32, v16, v32                                // 000000003574: 68404110
	s_mov_b32 s60, 0                                           // 000000003578: BEBC0080
	s_mov_b32 s35, 0                                           // 00000000357C: BEA30080
	s_mul_i32 s43, 32, s61                                     // 000000003580: 922B3DA0
	s_mul_i32 s44, 32, s80                                     // 000000003584: 922C50A0
	s_mul_i32 s40, s4, s33                                     // 000000003588: 92282104
	s_mul_hi_u32 s42, s4, s33                                  // 00000000358C: 962A2104
	s_and_b32 s42, s42, 0xffff                                 // 000000003590: 862AFF2A 0000FFFF
	s_mul_i32 s41, s3, s32                                     // 000000003598: 92292003
	s_add_u32 s40, s40, s41                                    // 00000000359C: 80282928
	s_add_u32 s8, s40, s8                                      // 0000000035A0: 80080828
	s_addc_u32 s9, s42, s9                                     // 0000000035A4: 8209092A
	s_mul_i32 s40, s4, s85                                     // 0000000035A8: 92285504
	s_mul_hi_u32 s42, s4, s85                                  // 0000000035AC: 962A5504
	s_and_b32 s42, s42, 0xffff                                 // 0000000035B0: 862AFF2A 0000FFFF
	s_mul_i32 s41, s3, s84                                     // 0000000035B8: 92295403
	s_add_u32 s40, s40, s41                                    // 0000000035BC: 80282928
	s_add_u32 s20, s40, s20                                    // 0000000035C0: 80141428
	s_addc_u32 s21, s42, s21                                   // 0000000035C4: 8215152A
	s_mul_i32 s40, s96, s86                                    // 0000000035C8: 92285660
	s_mul_i32 s40, s4, s40                                     // 0000000035CC: 92282804
	s_mul_i32 s41, s3, s86                                     // 0000000035D0: 92295603
	s_nop 0                                                    // 0000000035D4: BF800000
	s_add_i32 s40, s40, s41                                    // 0000000035D8: 81282928
	s_add_u32 s24, s40, s24                                    // 0000000035DC: 80181828
	s_addc_u32 s25, 0, s25                                     // 0000000035E0: 82191980
	s_mul_i32 s40, s4, s48                                     // 0000000035E4: 92283004
	s_mul_hi_u32 s42, s4, s48                                  // 0000000035E8: 962A3004
	s_and_b32 s42, s42, 0xffff                                 // 0000000035EC: 862AFF2A 0000FFFF
	s_mul_i32 s41, s66, s47                                    // 0000000035F4: 92292F42
	s_add_u32 s40, s40, s41                                    // 0000000035F8: 80282928
	s_add_u32 s12, s40, s12                                    // 0000000035FC: 800C0C28
	s_addc_u32 s13, s42, s13                                   // 000000003600: 820D0D2A
	s_mul_i32 s40, s4, s82                                     // 000000003604: 92285204
	s_mul_hi_u32 s42, s4, s82                                  // 000000003608: 962A5204
	s_and_b32 s42, s42, 0xffff                                 // 00000000360C: 862AFF2A 0000FFFF
	s_mul_i32 s41, s66, s81                                    // 000000003614: 92295142
	s_add_u32 s40, s40, s41                                    // 000000003618: 80282928
	s_add_u32 s16, s40, s16                                    // 00000000361C: 80101028
	s_addc_u32 s17, s42, s17                                   // 000000003620: 8211112A
	s_mov_b32 s52, 0                                           // 000000003624: BEB40080
	s_mov_b32 s53, 32                                          // 000000003628: BEB500A0
	s_mov_b32 s36, 0                                           // 00000000362C: BEA40080
	s_mov_b32 s29, 0x3fb8aa3b                                  // 000000003630: BE9D00FF 3FB8AA3B
	v_mov_b32_e32 v31, 0xff800000                              // 000000003638: 7E3E02FF FF800000
	s_mov_b32 s59, 0                                           // 000000003640: BEBB0080
	s_lshr_b32 s54, s7, 5                                      // 000000003644: 8F368507
	s_lshl_b32 s54, s54, 5                                     // 000000003648: 8E368536
	v_lshrrev_b32_e32 v16, 5, v0                               // 00000000364C: 20200085
	v_mul_i32_i24_e32 v30, 4, v16                              // 000000003650: 0C3C2084
	s_mov_b32 s38, s7                                          // 000000003654: BEA60007
	s_mov_b32 s39, 0                                           // 000000003658: BEA70080
	v_mov_b32_e32 v17, s29                                     // 00000000365C: 7E22021D
	v_mov_b32_e32 v16, s28                                     // 000000003660: 7E20021C
	v_mul_f32_e32 v16, s29, v16                                // 000000003664: 0A20201D
	v_rcp_f32_e32 v17, v17                                     // 000000003668: 7E224511
	v_mov_b32_e32 v22, 0                                       // 00000000366C: 7E2C0280
	v_mov_b32_e32 v28, 0xff7fffff                              // 000000003670: 7E3802FF FF7FFFFF
	v_mov_b32_e32 v20, 0                                       // 000000003678: 7E280280
	v_mov_b32_e32 v22, 0                                       // 00000000367C: 7E2C0280
	v_readfirstlane_b32 s56, v16                               // 000000003680: 7E700510
	v_readfirstlane_b32 s45, v17                               // 000000003684: 7E5A0511
	v_rcp_f32_e32 v16, v16                                     // 000000003688: 7E204510
	s_nop 1                                                    // 00000000368C: BF800001
	v_mul_f32_e32 v16, v28, v16                                // 000000003690: 0A20211C
	v_max_f32_e32 v28, v28, v16                                // 000000003694: 1638211C
	s_mul_i32 s63, s2, s31                                     // 000000003698: 923F1F02
	v_lshlrev_b32_e32 v8, 2, v0                                // 00000000369C: 24100082
	s_mul_i32 s40, s5, s62                                     // 0000000036A0: 92283E05
	v_add_u32_e32 v8, s40, v8                                  // 0000000036A4: 68101028
	s_mul_i32 s41, 8, s62                                      // 0000000036A8: 92293E88
	v_add_u32_e32 v9, s41, v8                                  // 0000000036AC: 68121029
	v_add_u32_e32 v10, s41, v9                                 // 0000000036B0: 68141229
	v_add_u32_e32 v11, s41, v10                                // 0000000036B4: 68161429
	v_add_u32_e32 v8, s63, v8                                  // 0000000036B8: 6810103F
	v_add_u32_e32 v9, s63, v9                                  // 0000000036BC: 6812123F
	v_add_u32_e32 v10, s63, v10                                // 0000000036C0: 6814143F
	v_add_u32_e32 v11, s63, v11                                // 0000000036C4: 6816163F
	s_mul_i32 s40, s5, 0x110                                   // 0000000036C8: 9228FF05 00000110
	s_add_u32 s58, 0x4400, s40                                 // 0000000036D0: 803A28FF 00004400
	s_mov_b32 s57, s56                                         // 0000000036D8: BEB90038
	s_mov_b32 s40, 0                                           // 0000000036DC: BEA80080
	s_add_u32 m0, s40, s58                                     // 0000000036E0: 807C3A28
	s_mul_i32 s40, 0, s62                                      // 0000000036E4: 92283E80
	v_add_u32_e32 v4, s40, v8                                  // 0000000036E8: 68081028
	v_add_u32_e32 v5, s40, v9                                  // 0000000036EC: 680A1228
	v_add_u32_e32 v6, s40, v10                                 // 0000000036F0: 680C1428
	v_add_u32_e32 v7, s40, v11                                 // 0000000036F4: 680E1628
	buffer_load_dword v4, s[8:11], s59 offen lds               // 0000000036F8: E0511000 3B020004
	s_add_u32 m0, 0x880, m0                                    // 000000003700: 807C7CFF 00000880
	buffer_load_dword v5, s[8:11], s59 offen lds               // 000000003708: E0511000 3B020005
	s_add_u32 m0, 0x880, m0                                    // 000000003710: 807C7CFF 00000880
	buffer_load_dword v6, s[8:11], s59 offen lds               // 000000003718: E0511000 3B020006
	s_add_u32 m0, 0x880, m0                                    // 000000003720: 807C7CFF 00000880
	buffer_load_dword v7, s[8:11], s59 offen lds               // 000000003728: E0511000 3B020007
	s_add_u32 m0, 0x880, m0                                    // 000000003730: 807C7CFF 00000880
	s_mov_b32 s40, 0x2200                                      // 000000003738: BEA800FF 00002200
	s_add_u32 m0, s40, s58                                     // 000000003740: 807C3A28
	s_mul_i32 s40, 32, s62                                     // 000000003744: 92283EA0
	v_add_u32_e32 v4, s40, v8                                  // 000000003748: 68081028
	v_add_u32_e32 v5, s40, v9                                  // 00000000374C: 680A1228
	v_add_u32_e32 v6, s40, v10                                 // 000000003750: 680C1428
	v_add_u32_e32 v7, s40, v11                                 // 000000003754: 680E1628
	buffer_load_dword v4, s[8:11], s59 offen lds               // 000000003758: E0511000 3B020004
	s_add_u32 m0, 0x880, m0                                    // 000000003760: 807C7CFF 00000880
	buffer_load_dword v5, s[8:11], s59 offen lds               // 000000003768: E0511000 3B020005
	s_add_u32 m0, 0x880, m0                                    // 000000003770: 807C7CFF 00000880
	buffer_load_dword v6, s[8:11], s59 offen lds               // 000000003778: E0511000 3B020006
	s_add_u32 m0, 0x880, m0                                    // 000000003780: 807C7CFF 00000880
	buffer_load_dword v7, s[8:11], s59 offen lds               // 000000003788: E0511000 3B020007
	s_add_u32 m0, 0x880, m0                                    // 000000003790: 807C7CFF 00000880
	s_mov_b32 s40, 0x4400                                      // 000000003798: BEA800FF 00004400
	s_add_u32 m0, s40, s58                                     // 0000000037A0: 807C3A28
	s_mul_i32 s40, 64, s62                                     // 0000000037A4: 92283EC0
	v_add_u32_e32 v4, s40, v8                                  // 0000000037A8: 68081028
	v_add_u32_e32 v5, s40, v9                                  // 0000000037AC: 680A1228
	v_add_u32_e32 v6, s40, v10                                 // 0000000037B0: 680C1428
	v_add_u32_e32 v7, s40, v11                                 // 0000000037B4: 680E1628
	buffer_load_dword v4, s[8:11], s59 offen lds               // 0000000037B8: E0511000 3B020004
	s_add_u32 m0, 0x880, m0                                    // 0000000037C0: 807C7CFF 00000880
	buffer_load_dword v5, s[8:11], s59 offen lds               // 0000000037C8: E0511000 3B020005
	s_add_u32 m0, 0x880, m0                                    // 0000000037D0: 807C7CFF 00000880
	buffer_load_dword v6, s[8:11], s59 offen lds               // 0000000037D8: E0511000 3B020006
	s_add_u32 m0, 0x880, m0                                    // 0000000037E0: 807C7CFF 00000880
	buffer_load_dword v7, s[8:11], s59 offen lds               // 0000000037E8: E0511000 3B020007
	s_add_u32 m0, 0x880, m0                                    // 0000000037F0: 807C7CFF 00000880
	s_mov_b32 s40, 0x6600                                      // 0000000037F8: BEA800FF 00006600
	s_add_u32 m0, s40, s58                                     // 000000003800: 807C3A28
	s_mul_i32 s40, 0x60, s62                                   // 000000003804: 92283EFF 00000060
	v_add_u32_e32 v4, s40, v8                                  // 00000000380C: 68081028
	v_add_u32_e32 v5, s40, v9                                  // 000000003810: 680A1228
	v_add_u32_e32 v6, s40, v10                                 // 000000003814: 680C1428
	v_add_u32_e32 v7, s40, v11                                 // 000000003818: 680E1628
	buffer_load_dword v4, s[8:11], s59 offen lds               // 00000000381C: E0511000 3B020004
	s_add_u32 m0, 0x880, m0                                    // 000000003824: 807C7CFF 00000880
	buffer_load_dword v5, s[8:11], s59 offen lds               // 00000000382C: E0511000 3B020005
	s_add_u32 m0, 0x880, m0                                    // 000000003834: 807C7CFF 00000880
	buffer_load_dword v6, s[8:11], s59 offen lds               // 00000000383C: E0511000 3B020006
	s_add_u32 m0, 0x880, m0                                    // 000000003844: 807C7CFF 00000880
	buffer_load_dword v7, s[8:11], s59 offen lds               // 00000000384C: E0511000 3B020007
	s_add_u32 m0, 0x880, m0                                    // 000000003854: 807C7CFF 00000880
	v_mov_b32_e32 v96, 0                                       // 00000000385C: 7EC00280
	v_mov_b32_e32 v97, 0                                       // 000000003860: 7EC20280
	v_mov_b32_e32 v98, 0                                       // 000000003864: 7EC40280
	v_mov_b32_e32 v99, 0                                       // 000000003868: 7EC60280
	v_mov_b32_e32 v100, 0                                      // 00000000386C: 7EC80280
	v_mov_b32_e32 v101, 0                                      // 000000003870: 7ECA0280
	v_mov_b32_e32 v102, 0                                      // 000000003874: 7ECC0280
	v_mov_b32_e32 v103, 0                                      // 000000003878: 7ECE0280
	v_mov_b32_e32 v104, 0                                      // 00000000387C: 7ED00280
	v_mov_b32_e32 v105, 0                                      // 000000003880: 7ED20280
	v_mov_b32_e32 v106, 0                                      // 000000003884: 7ED40280
	v_mov_b32_e32 v107, 0                                      // 000000003888: 7ED60280
	v_mov_b32_e32 v108, 0                                      // 00000000388C: 7ED80280
	v_mov_b32_e32 v109, 0                                      // 000000003890: 7EDA0280
	v_mov_b32_e32 v110, 0                                      // 000000003894: 7EDC0280
	v_mov_b32_e32 v111, 0                                      // 000000003898: 7EDE0280
	v_mov_b32_e32 v112, 0                                      // 00000000389C: 7EE00280
	v_mov_b32_e32 v113, 0                                      // 0000000038A0: 7EE20280
	v_mov_b32_e32 v114, 0                                      // 0000000038A4: 7EE40280
	v_mov_b32_e32 v115, 0                                      // 0000000038A8: 7EE60280
	v_mov_b32_e32 v116, 0                                      // 0000000038AC: 7EE80280
	v_mov_b32_e32 v117, 0                                      // 0000000038B0: 7EEA0280
	v_mov_b32_e32 v118, 0                                      // 0000000038B4: 7EEC0280
	v_mov_b32_e32 v119, 0                                      // 0000000038B8: 7EEE0280
	v_mov_b32_e32 v120, 0                                      // 0000000038BC: 7EF00280
	v_mov_b32_e32 v121, 0                                      // 0000000038C0: 7EF20280
	v_mov_b32_e32 v122, 0                                      // 0000000038C4: 7EF40280
	v_mov_b32_e32 v123, 0                                      // 0000000038C8: 7EF60280
	v_mov_b32_e32 v124, 0                                      // 0000000038CC: 7EF80280
	v_mov_b32_e32 v125, 0                                      // 0000000038D0: 7EFA0280
	v_mov_b32_e32 v126, 0                                      // 0000000038D4: 7EFC0280
	v_mov_b32_e32 v127, 0                                      // 0000000038D8: 7EFE0280
	v_lshrrev_b32_e32 v16, 5, v0                               // 0000000038DC: 20200085
	v_mul_i32_i24_e32 v17, 4, v16                              // 0000000038E0: 0C222084
	v_and_b32_e32 v16, 31, v0                                  // 0000000038E4: 2620009F
	v_mul_i32_i24_e32 v2, 0x44, v16                            // 0000000038E8: 0C0420FF 00000044
	v_add_u32_e32 v2, v2, v17                                  // 0000000038F0: 68042302
	v_lshlrev_b32_e32 v2, 2, v2                                // 0000000038F4: 24040482
	s_and_b32 s40, 3, s5                                       // 0000000038F8: 86280583
	s_mul_i32 s40, s40, 0x2200                                 // 0000000038FC: 9228FF28 00002200
	v_add_u32_e32 v2, s40, v2                                  // 000000003904: 68040428
	s_waitcnt vmcnt(0) expcnt(0) lgkmcnt(0)                    // 000000003908: BF8C0000
	s_barrier                                                  // 00000000390C: BF8A0000
	s_cmp_lt_i32 s5, 4                                         // 000000003910: BF048405
	s_cbranch_scc0 label_0196                                  // 000000003914: BF840010
	ds_read_b128 v[160:163], v2 offset:17408                   // 000000003918: D9FE4400 A0000002
	ds_read_b128 v[164:167], v2 offset:17440                   // 000000003920: D9FE4420 A4000002
	ds_read_b128 v[168:171], v2 offset:17472                   // 000000003928: D9FE4440 A8000002
	ds_read_b128 v[172:175], v2 offset:17504                   // 000000003930: D9FE4460 AC000002
	ds_read_b128 v[176:179], v2 offset:17536                   // 000000003938: D9FE4480 B0000002
	ds_read_b128 v[180:183], v2 offset:17568                   // 000000003940: D9FE44A0 B4000002
	ds_read_b128 v[184:187], v2 offset:17600                   // 000000003948: D9FE44C0 B8000002
	ds_read_b128 v[188:191], v2 offset:17632                   // 000000003950: D9FE44E0 BC000002

0000000000003958 <label_0196>:
	s_waitcnt vmcnt(0) expcnt(0) lgkmcnt(0)                    // 000000003958: BF8C0000
	s_barrier                                                  // 00000000395C: BF8A0000
	s_mov_b32 s40, 0                                           // 000000003960: BEA80080
	s_add_u32 m0, s40, s58                                     // 000000003964: 807C3A28
	s_mul_i32 s40, 0x80, s62                                   // 000000003968: 92283EFF 00000080
	v_add_u32_e32 v4, s40, v8                                  // 000000003970: 68081028
	v_add_u32_e32 v5, s40, v9                                  // 000000003974: 680A1228
	v_add_u32_e32 v6, s40, v10                                 // 000000003978: 680C1428
	v_add_u32_e32 v7, s40, v11                                 // 00000000397C: 680E1628
	buffer_load_dword v4, s[8:11], s59 offen lds               // 000000003980: E0511000 3B020004
	s_add_u32 m0, 0x880, m0                                    // 000000003988: 807C7CFF 00000880
	buffer_load_dword v5, s[8:11], s59 offen lds               // 000000003990: E0511000 3B020005
	s_add_u32 m0, 0x880, m0                                    // 000000003998: 807C7CFF 00000880
	buffer_load_dword v6, s[8:11], s59 offen lds               // 0000000039A0: E0511000 3B020006
	s_add_u32 m0, 0x880, m0                                    // 0000000039A8: 807C7CFF 00000880
	buffer_load_dword v7, s[8:11], s59 offen lds               // 0000000039B0: E0511000 3B020007
	s_add_u32 m0, 0x880, m0                                    // 0000000039B8: 807C7CFF 00000880
	s_mov_b32 s40, 0x2200                                      // 0000000039C0: BEA800FF 00002200
	s_add_u32 m0, s40, s58                                     // 0000000039C8: 807C3A28
	s_mul_i32 s40, 0xa0, s62                                   // 0000000039CC: 92283EFF 000000A0
	v_add_u32_e32 v4, s40, v8                                  // 0000000039D4: 68081028
	v_add_u32_e32 v5, s40, v9                                  // 0000000039D8: 680A1228
	v_add_u32_e32 v6, s40, v10                                 // 0000000039DC: 680C1428
	v_add_u32_e32 v7, s40, v11                                 // 0000000039E0: 680E1628
	buffer_load_dword v4, s[8:11], s59 offen lds               // 0000000039E4: E0511000 3B020004
	s_add_u32 m0, 0x880, m0                                    // 0000000039EC: 807C7CFF 00000880
	buffer_load_dword v5, s[8:11], s59 offen lds               // 0000000039F4: E0511000 3B020005
	s_add_u32 m0, 0x880, m0                                    // 0000000039FC: 807C7CFF 00000880
	buffer_load_dword v6, s[8:11], s59 offen lds               // 000000003A04: E0511000 3B020006
	s_add_u32 m0, 0x880, m0                                    // 000000003A0C: 807C7CFF 00000880
	buffer_load_dword v7, s[8:11], s59 offen lds               // 000000003A14: E0511000 3B020007
	s_add_u32 m0, 0x880, m0                                    // 000000003A1C: 807C7CFF 00000880
	s_mov_b32 s40, 0x4400                                      // 000000003A24: BEA800FF 00004400
	s_add_u32 m0, s40, s58                                     // 000000003A2C: 807C3A28
	s_mul_i32 s40, 0xc0, s62                                   // 000000003A30: 92283EFF 000000C0
	v_add_u32_e32 v4, s40, v8                                  // 000000003A38: 68081028
	v_add_u32_e32 v5, s40, v9                                  // 000000003A3C: 680A1228
	v_add_u32_e32 v6, s40, v10                                 // 000000003A40: 680C1428
	v_add_u32_e32 v7, s40, v11                                 // 000000003A44: 680E1628
	buffer_load_dword v4, s[8:11], s59 offen lds               // 000000003A48: E0511000 3B020004
	s_add_u32 m0, 0x880, m0                                    // 000000003A50: 807C7CFF 00000880
	buffer_load_dword v5, s[8:11], s59 offen lds               // 000000003A58: E0511000 3B020005
	s_add_u32 m0, 0x880, m0                                    // 000000003A60: 807C7CFF 00000880
	buffer_load_dword v6, s[8:11], s59 offen lds               // 000000003A68: E0511000 3B020006
	s_add_u32 m0, 0x880, m0                                    // 000000003A70: 807C7CFF 00000880
	buffer_load_dword v7, s[8:11], s59 offen lds               // 000000003A78: E0511000 3B020007
	s_add_u32 m0, 0x880, m0                                    // 000000003A80: 807C7CFF 00000880
	s_mov_b32 s40, 0x6600                                      // 000000003A88: BEA800FF 00006600
	s_add_u32 m0, s40, s58                                     // 000000003A90: 807C3A28
	s_mul_i32 s40, 0xe0, s62                                   // 000000003A94: 92283EFF 000000E0
	v_add_u32_e32 v4, s40, v8                                  // 000000003A9C: 68081028
	v_add_u32_e32 v5, s40, v9                                  // 000000003AA0: 680A1228
	v_add_u32_e32 v6, s40, v10                                 // 000000003AA4: 680C1428
	v_add_u32_e32 v7, s40, v11                                 // 000000003AA8: 680E1628
	buffer_load_dword v4, s[8:11], s59 offen lds               // 000000003AAC: E0511000 3B020004
	s_add_u32 m0, 0x880, m0                                    // 000000003AB4: 807C7CFF 00000880
	buffer_load_dword v5, s[8:11], s59 offen lds               // 000000003ABC: E0511000 3B020005
	s_add_u32 m0, 0x880, m0                                    // 000000003AC4: 807C7CFF 00000880
	buffer_load_dword v6, s[8:11], s59 offen lds               // 000000003ACC: E0511000 3B020006
	s_add_u32 m0, 0x880, m0                                    // 000000003AD4: 807C7CFF 00000880
	buffer_load_dword v7, s[8:11], s59 offen lds               // 000000003ADC: E0511000 3B020007
	s_add_u32 m0, 0x880, m0                                    // 000000003AE4: 807C7CFF 00000880
	v_mov_b32_e32 v128, 0                                      // 000000003AEC: 7F000280
	v_mov_b32_e32 v129, 0                                      // 000000003AF0: 7F020280
	v_mov_b32_e32 v130, 0                                      // 000000003AF4: 7F040280
	v_mov_b32_e32 v131, 0                                      // 000000003AF8: 7F060280
	v_mov_b32_e32 v132, 0                                      // 000000003AFC: 7F080280
	v_mov_b32_e32 v133, 0                                      // 000000003B00: 7F0A0280
	v_mov_b32_e32 v134, 0                                      // 000000003B04: 7F0C0280
	v_mov_b32_e32 v135, 0                                      // 000000003B08: 7F0E0280
	v_mov_b32_e32 v136, 0                                      // 000000003B0C: 7F100280
	v_mov_b32_e32 v137, 0                                      // 000000003B10: 7F120280
	v_mov_b32_e32 v138, 0                                      // 000000003B14: 7F140280
	v_mov_b32_e32 v139, 0                                      // 000000003B18: 7F160280
	v_mov_b32_e32 v140, 0                                      // 000000003B1C: 7F180280
	v_mov_b32_e32 v141, 0                                      // 000000003B20: 7F1A0280
	v_mov_b32_e32 v142, 0                                      // 000000003B24: 7F1C0280
	v_mov_b32_e32 v143, 0                                      // 000000003B28: 7F1E0280
	v_mov_b32_e32 v144, 0                                      // 000000003B2C: 7F200280
	v_mov_b32_e32 v145, 0                                      // 000000003B30: 7F220280
	v_mov_b32_e32 v146, 0                                      // 000000003B34: 7F240280
	v_mov_b32_e32 v147, 0                                      // 000000003B38: 7F260280
	v_mov_b32_e32 v148, 0                                      // 000000003B3C: 7F280280
	v_mov_b32_e32 v149, 0                                      // 000000003B40: 7F2A0280
	v_mov_b32_e32 v150, 0                                      // 000000003B44: 7F2C0280
	v_mov_b32_e32 v151, 0                                      // 000000003B48: 7F2E0280
	v_mov_b32_e32 v152, 0                                      // 000000003B4C: 7F300280
	v_mov_b32_e32 v153, 0                                      // 000000003B50: 7F320280
	v_mov_b32_e32 v154, 0                                      // 000000003B54: 7F340280
	v_mov_b32_e32 v155, 0                                      // 000000003B58: 7F360280
	v_mov_b32_e32 v156, 0                                      // 000000003B5C: 7F380280
	v_mov_b32_e32 v157, 0                                      // 000000003B60: 7F3A0280
	v_mov_b32_e32 v158, 0                                      // 000000003B64: 7F3C0280
	v_mov_b32_e32 v159, 0                                      // 000000003B68: 7F3E0280
	s_cmp_le_u32 s7, 0                                         // 000000003B6C: BF0B8007
	s_cbranch_scc1 label_0B8C                                  // 000000003B70: BF85096F
	v_lshrrev_b32_e32 v16, 5, v0                               // 000000003B74: 20200085
	v_mul_i32_i24_e32 v17, 4, v16                              // 000000003B78: 0C222084
	v_and_b32_e32 v16, 31, v0                                  // 000000003B7C: 2620009F
	v_mul_i32_i24_e32 v12, 0x44, v16                           // 000000003B80: 0C1820FF 00000044
	v_add_u32_e32 v12, v12, v17                                // 000000003B88: 6818230C
	v_lshlrev_b32_e32 v12, 2, v12                              // 000000003B8C: 24181882
	v_lshrrev_b32_e32 v16, 5, v0                               // 000000003B90: 20200085
	v_mul_i32_i24_e32 v17, 0x80, v16                           // 000000003B94: 0C2220FF 00000080
	v_and_b32_e32 v16, 30, v0                                  // 000000003B9C: 2620009E
	v_add_u32_e32 v13, v17, v16                                // 000000003BA0: 681A2111
	v_and_b32_e32 v16, 1, v0                                   // 000000003BA4: 26200081
	v_mul_i32_i24_e32 v16, 0x410, v16                          // 000000003BA8: 0C2020FF 00000410
	v_add_u32_e32 v13, v16, v13                                // 000000003BB0: 681A1B10
	v_lshlrev_b32_e32 v13, 2, v13                              // 000000003BB4: 241A1A82
	v_lshlrev_b32_e32 v14, 1, v0                               // 000000003BB8: 241C0081
	s_mul_i32 s40, s5, 0x80                                    // 000000003BBC: 9228FF05 00000080
	v_add_u32_e32 v14, s40, v14                                // 000000003BC4: 681C1C28
	v_lshlrev_b32_e32 v14, 2, v14                              // 000000003BC8: 241C1C82
	v_lshlrev_b32_e32 v4, 2, v0                                // 000000003BCC: 24080082
	s_mul_i32 s40, s5, s61                                     // 000000003BD0: 92283D05
	v_add_u32_e32 v4, s40, v4                                  // 000000003BD4: 68080828
	s_mul_i32 s41, 8, s61                                      // 000000003BD8: 92293D88
	v_add_u32_e32 v5, s41, v4                                  // 000000003BDC: 680A0829
	v_add_u32_e32 v6, s41, v5                                  // 000000003BE0: 680C0A29
	v_add_u32_e32 v7, s41, v6                                  // 000000003BE4: 680E0C29
	s_mul_i32 s40, s5, 0x110                                   // 000000003BE8: 9228FF05 00000110
	s_add_u32 s68, 0, s40                                      // 000000003BF0: 80442880
	s_add_u32 s69, 0x2200, s68                                 // 000000003BF4: 804544FF 00002200
	v_lshlrev_b32_e32 v8, 2, v0                                // 000000003BFC: 24100082
	s_mul_i32 s40, s5, s80                                     // 000000003C00: 92285005
	s_mul_i32 s40, s40, 4                                      // 000000003C04: 92288428
	v_add_u32_e32 v8, s40, v8                                  // 000000003C08: 68101028
	v_add_u32_e32 v9, s80, v8                                  // 000000003C0C: 68121050
	v_add_u32_e32 v10, s80, v9                                 // 000000003C10: 68141250
	v_add_u32_e32 v11, s80, v10                                // 000000003C14: 68161450
	s_waitcnt vmcnt(0) expcnt(0) lgkmcnt(0)                    // 000000003C18: BF8C0000
	s_barrier                                                  // 000000003C1C: BF8A0000
	s_cmp_lt_i32 s5, 4                                         // 000000003C20: BF048405
	s_cbranch_scc1 label_025A                                  // 000000003C24: BF850010
	ds_read_b128 v[160:163], v2 offset:17408                   // 000000003C28: D9FE4400 A0000002
	ds_read_b128 v[164:167], v2 offset:17440                   // 000000003C30: D9FE4420 A4000002
	ds_read_b128 v[168:171], v2 offset:17472                   // 000000003C38: D9FE4440 A8000002
	ds_read_b128 v[172:175], v2 offset:17504                   // 000000003C40: D9FE4460 AC000002
	ds_read_b128 v[176:179], v2 offset:17536                   // 000000003C48: D9FE4480 B0000002
	ds_read_b128 v[180:183], v2 offset:17568                   // 000000003C50: D9FE44A0 B4000002
	ds_read_b128 v[184:187], v2 offset:17600                   // 000000003C58: D9FE44C0 B8000002
	ds_read_b128 v[188:191], v2 offset:17632                   // 000000003C60: D9FE44E0 BC000002

0000000000003c68 <label_025A>:
	s_waitcnt vmcnt(0) expcnt(0) lgkmcnt(0)                    // 000000003C68: BF8C0000
	s_barrier                                                  // 000000003C6C: BF8A0000
	s_mov_b32 m0, s68                                          // 000000003C70: BEFC0044
	buffer_load_dword v4, s[12:15], s60 offen lds              // 000000003C74: E0511000 3C030004
	s_add_u32 m0, 0x880, m0                                    // 000000003C7C: 807C7CFF 00000880
	buffer_load_dword v5, s[12:15], s60 offen lds              // 000000003C84: E0511000 3C030005
	s_add_u32 m0, 0x880, m0                                    // 000000003C8C: 807C7CFF 00000880
	buffer_load_dword v6, s[12:15], s60 offen lds              // 000000003C94: E0511000 3C030006
	s_add_u32 m0, 0x880, m0                                    // 000000003C9C: 807C7CFF 00000880
	buffer_load_dword v7, s[12:15], s60 offen lds              // 000000003CA4: E0511000 3C030007
	s_add_u32 m0, 0x880, m0                                    // 000000003CAC: 807C7CFF 00000880
	s_add_i32 s60, s43, s60                                    // 000000003CB4: 813C3C2B
	s_waitcnt vmcnt(0)                                         // 000000003CB8: BF8C0F70
	s_barrier                                                  // 000000003CBC: BF8A0000
	ds_read_b128 v[192:195], v12                               // 000000003CC0: D9FE0000 C000000C
	ds_read_b128 v[196:199], v12 offset:32                     // 000000003CC8: D9FE0020 C400000C
	ds_read_b128 v[200:203], v12 offset:64                     // 000000003CD0: D9FE0040 C800000C
	ds_read_b128 v[204:207], v12 offset:96                     // 000000003CD8: D9FE0060 CC00000C
	ds_read_b128 v[208:211], v12 offset:128                    // 000000003CE0: D9FE0080 D000000C
	ds_read_b128 v[212:215], v12 offset:160                    // 000000003CE8: D9FE00A0 D400000C
	ds_read_b128 v[216:219], v12 offset:192                    // 000000003CF0: D9FE00C0 D800000C
	ds_read_b128 v[220:223], v12 offset:224                    // 000000003CF8: D9FE00E0 DC00000C
	s_waitcnt lgkmcnt(0)                                       // 000000003D00: BF8CC07F
	s_barrier                                                  // 000000003D04: BF8A0000
	s_mov_b32 m0, s69                                          // 000000003D08: BEFC0045
	v_mfma_f32_32x32x8_bf16 v[64:79], v[192:193], v[160:161], 0// 000000003D0C: D3E00040 020341C0
	buffer_load_dword v4, s[12:15], s60 offen lds              // 000000003D14: E0511000 3C030004
	s_add_u32 m0, 0x880, m0                                    // 000000003D1C: 807C7CFF 00000880
	v_mfma_f32_32x32x8_bf16 v[64:79], v[194:195], v[162:163], v[64:79]// 000000003D24: D3E00040 050345C2
	v_mfma_f32_32x32x8_bf16 v[64:79], v[196:197], v[164:165], v[64:79]// 000000003D2C: D3E00040 050349C4
	buffer_load_dword v5, s[12:15], s60 offen lds              // 000000003D34: E0511000 3C030005
	s_add_u32 m0, 0x880, m0                                    // 000000003D3C: 807C7CFF 00000880
	v_mfma_f32_32x32x8_bf16 v[64:79], v[198:199], v[166:167], v[64:79]// 000000003D44: D3E00040 05034DC6
	v_mfma_f32_32x32x8_bf16 v[64:79], v[200:201], v[168:169], v[64:79]// 000000003D4C: D3E00040 050351C8
	buffer_load_dword v6, s[12:15], s60 offen lds              // 000000003D54: E0511000 3C030006
	s_add_u32 m0, 0x880, m0                                    // 000000003D5C: 807C7CFF 00000880
	v_mfma_f32_32x32x8_bf16 v[64:79], v[202:203], v[170:171], v[64:79]// 000000003D64: D3E00040 050355CA
	v_mfma_f32_32x32x8_bf16 v[64:79], v[204:205], v[172:173], v[64:79]// 000000003D6C: D3E00040 050359CC
	buffer_load_dword v7, s[12:15], s60 offen lds              // 000000003D74: E0511000 3C030007
	s_add_u32 m0, 0x880, m0                                    // 000000003D7C: 807C7CFF 00000880
	v_mfma_f32_32x32x8_bf16 v[64:79], v[206:207], v[174:175], v[64:79]// 000000003D84: D3E00040 05035DCE
	v_mfma_f32_32x32x8_bf16 v[64:79], v[208:209], v[176:177], v[64:79]// 000000003D8C: D3E00040 050361D0
	buffer_load_dword v224, v8, s[16:19], s35 offen            // 000000003D94: E0501000 2304E008
	v_mfma_f32_32x32x8_bf16 v[64:79], v[210:211], v[178:179], v[64:79]// 000000003D9C: D3E00040 050365D2
	v_mfma_f32_32x32x8_bf16 v[64:79], v[212:213], v[180:181], v[64:79]// 000000003DA4: D3E00040 050369D4
	buffer_load_dword v225, v9, s[16:19], s35 offen            // 000000003DAC: E0501000 2304E109
	v_mfma_f32_32x32x8_bf16 v[64:79], v[214:215], v[182:183], v[64:79]// 000000003DB4: D3E00040 05036DD6
	v_mfma_f32_32x32x8_bf16 v[64:79], v[216:217], v[184:185], v[64:79]// 000000003DBC: D3E00040 050371D8
	buffer_load_dword v226, v10, s[16:19], s35 offen           // 000000003DC4: E0501000 2304E20A
	v_mfma_f32_32x32x8_bf16 v[64:79], v[218:219], v[186:187], v[64:79]// 000000003DCC: D3E00040 050375DA
	v_mfma_f32_32x32x8_bf16 v[64:79], v[220:221], v[188:189], v[64:79]// 000000003DD4: D3E00040 050379DC
	buffer_load_dword v227, v11, s[16:19], s35 offen           // 000000003DDC: E0501000 2304E30B
	v_mfma_f32_32x32x8_bf16 v[64:79], v[222:223], v[190:191], v[64:79]// 000000003DE4: D3E00040 05037DDE
	s_add_i32 s60, s43, s60                                    // 000000003DEC: 813C3C2B
	s_add_i32 s35, s44, s35                                    // 000000003DF0: 8123232C
	s_cmp_lt_i32 s52, s54                                      // 000000003DF4: BF043634
	s_cbranch_scc1 label_0302                                  // 000000003DF8: BF850043
	s_sub_i32 s40, s7, s52                                     // 000000003DFC: 81A83407
	v_sub_i32 v16, s40, v30                                    // 000000003E00: D29D0010 00023C28
	v_cmp_lt_i32_e64 s[72:73], 0, v16                          // 000000003E08: D0C10048 00022080
	v_cmp_lt_i32_e64 s[74:75], 1, v16                          // 000000003E10: D0C1004A 00022081
	v_cndmask_b32_e64 v64, v31, v64, s[72:73]                  // 000000003E18: D1000040 0122811F
	v_cndmask_b32_e64 v65, v31, v65, s[74:75]                  // 000000003E20: D1000041 012A831F
	v_cmp_lt_i32_e64 s[72:73], 2, v16                          // 000000003E28: D0C10048 00022082
	v_cmp_lt_i32_e64 s[74:75], 3, v16                          // 000000003E30: D0C1004A 00022083
	v_cndmask_b32_e64 v66, v31, v66, s[72:73]                  // 000000003E38: D1000042 0122851F
	v_cndmask_b32_e64 v67, v31, v67, s[74:75]                  // 000000003E40: D1000043 012A871F
	v_cmp_lt_i32_e64 s[72:73], 8, v16                          // 000000003E48: D0C10048 00022088
	v_cmp_lt_i32_e64 s[74:75], 9, v16                          // 000000003E50: D0C1004A 00022089
	v_cndmask_b32_e64 v68, v31, v68, s[72:73]                  // 000000003E58: D1000044 0122891F
	v_cndmask_b32_e64 v69, v31, v69, s[74:75]                  // 000000003E60: D1000045 012A8B1F
	v_cmp_lt_i32_e64 s[72:73], 10, v16                         // 000000003E68: D0C10048 0002208A
	v_cmp_lt_i32_e64 s[74:75], 11, v16                         // 000000003E70: D0C1004A 0002208B
	v_cndmask_b32_e64 v70, v31, v70, s[72:73]                  // 000000003E78: D1000046 01228D1F
	v_cndmask_b32_e64 v71, v31, v71, s[74:75]                  // 000000003E80: D1000047 012A8F1F
	v_cmp_lt_i32_e64 s[72:73], 16, v16                         // 000000003E88: D0C10048 00022090
	v_cmp_lt_i32_e64 s[74:75], 17, v16                         // 000000003E90: D0C1004A 00022091
	v_cndmask_b32_e64 v72, v31, v72, s[72:73]                  // 000000003E98: D1000048 0122911F
	v_cndmask_b32_e64 v73, v31, v73, s[74:75]                  // 000000003EA0: D1000049 012A931F
	v_cmp_lt_i32_e64 s[72:73], 18, v16                         // 000000003EA8: D0C10048 00022092
	v_cmp_lt_i32_e64 s[74:75], 19, v16                         // 000000003EB0: D0C1004A 00022093
	v_cndmask_b32_e64 v74, v31, v74, s[72:73]                  // 000000003EB8: D100004A 0122951F
	v_cndmask_b32_e64 v75, v31, v75, s[74:75]                  // 000000003EC0: D100004B 012A971F
	v_cmp_lt_i32_e64 s[72:73], 24, v16                         // 000000003EC8: D0C10048 00022098
	v_cmp_lt_i32_e64 s[74:75], 25, v16                         // 000000003ED0: D0C1004A 00022099
	v_cndmask_b32_e64 v76, v31, v76, s[72:73]                  // 000000003ED8: D100004C 0122991F
	v_cndmask_b32_e64 v77, v31, v77, s[74:75]                  // 000000003EE0: D100004D 012A9B1F
	v_cmp_lt_i32_e64 s[72:73], 26, v16                         // 000000003EE8: D0C10048 0002209A
	v_cmp_lt_i32_e64 s[74:75], 27, v16                         // 000000003EF0: D0C1004A 0002209B
	v_cndmask_b32_e64 v78, v31, v78, s[72:73]                  // 000000003EF8: D100004E 01229D1F
	v_cndmask_b32_e64 v79, v31, v79, s[74:75]                  // 000000003F00: D100004F 012A9F1F

0000000000003f08 <label_0302>:
	s_nop 0                                                    // 000000003F08: BF800000
	v_max3_f32 v25, v64, v65, v28                              // 000000003F0C: D1D30019 04728340
	v_max3_f32 v25, v66, v67, v25                              // 000000003F14: D1D30019 04668742
	v_max3_f32 v25, v68, v69, v25                              // 000000003F1C: D1D30019 04668B44
	v_max3_f32 v25, v70, v71, v25                              // 000000003F24: D1D30019 04668F46
	v_max3_f32 v25, v72, v73, v25                              // 000000003F2C: D1D30019 04669348
	v_max3_f32 v25, v74, v75, v25                              // 000000003F34: D1D30019 0466974A
	v_max3_f32 v25, v76, v77, v25                              // 000000003F3C: D1D30019 04669B4C
	v_max3_f32 v25, v78, v79, v25                              // 000000003F44: D1D30019 04669F4E
	ds_permute_b32 v24, v32, v25                               // 000000003F4C: D87C0000 18001920
	v_nop                                                      // 000000003F54: 7E000000
	s_nop 0                                                    // 000000003F58: BF800000
	v_nop                                                      // 000000003F5C: 7E000000
	s_waitcnt lgkmcnt(0)                                       // 000000003F60: BF8CC07F
	v_max_f32_e32 v25, v24, v25                                // 000000003F64: 16323318
	v_mov_b32_e32 v20, 0                                       // 000000003F68: 7E280280
	v_mov_b32_e32 v28, v25                                     // 000000003F6C: 7E380319
	v_mul_f32_e32 v27, s56, v25                                // 000000003F70: 0A363238
	v_mul_f32_e32 v20, s56, v20                                // 000000003F74: 0A282838
	v_exp_f32_e32 v20, v20                                     // 000000003F78: 7E284114
	v_fma_f32 v64, v64, s56, -v27                              // 000000003F7C: D1CB0040 846C7140
	v_fma_f32 v65, v65, s56, -v27                              // 000000003F84: D1CB0041 846C7141
	v_fma_f32 v66, v66, s56, -v27                              // 000000003F8C: D1CB0042 846C7142
	v_fma_f32 v67, v67, s56, -v27                              // 000000003F94: D1CB0043 846C7143
	v_fma_f32 v68, v68, s56, -v27                              // 000000003F9C: D1CB0044 846C7144
	v_fma_f32 v69, v69, s56, -v27                              // 000000003FA4: D1CB0045 846C7145
	v_fma_f32 v70, v70, s56, -v27                              // 000000003FAC: D1CB0046 846C7146
	v_fma_f32 v71, v71, s56, -v27                              // 000000003FB4: D1CB0047 846C7147
	v_fma_f32 v72, v72, s56, -v27                              // 000000003FBC: D1CB0048 846C7148
	v_fma_f32 v73, v73, s56, -v27                              // 000000003FC4: D1CB0049 846C7149
	v_fma_f32 v74, v74, s56, -v27                              // 000000003FCC: D1CB004A 846C714A
	v_fma_f32 v75, v75, s56, -v27                              // 000000003FD4: D1CB004B 846C714B
	v_fma_f32 v76, v76, s56, -v27                              // 000000003FDC: D1CB004C 846C714C
	v_fma_f32 v77, v77, s56, -v27                              // 000000003FE4: D1CB004D 846C714D
	v_fma_f32 v78, v78, s56, -v27                              // 000000003FEC: D1CB004E 846C714E
	v_fma_f32 v79, v79, s56, -v27                              // 000000003FF4: D1CB004F 846C714F
	v_exp_f32_e32 v64, v64                                     // 000000003FFC: 7E804140
	v_exp_f32_e32 v65, v65                                     // 000000004000: 7E824141
	v_exp_f32_e32 v66, v66                                     // 000000004004: 7E844142
	v_exp_f32_e32 v67, v67                                     // 000000004008: 7E864143
	v_exp_f32_e32 v68, v68                                     // 00000000400C: 7E884144
	v_exp_f32_e32 v69, v69                                     // 000000004010: 7E8A4145
	v_exp_f32_e32 v70, v70                                     // 000000004014: 7E8C4146
	v_exp_f32_e32 v71, v71                                     // 000000004018: 7E8E4147
	v_exp_f32_e32 v72, v72                                     // 00000000401C: 7E904148
	v_exp_f32_e32 v73, v73                                     // 000000004020: 7E924149
	v_exp_f32_e32 v74, v74                                     // 000000004024: 7E94414A
	v_exp_f32_e32 v75, v75                                     // 000000004028: 7E96414B
	v_exp_f32_e32 v76, v76                                     // 00000000402C: 7E98414C
	v_exp_f32_e32 v77, v77                                     // 000000004030: 7E9A414D
	v_exp_f32_e32 v78, v78                                     // 000000004034: 7E9C414E
	s_addk_i32 s39, 0x20                                       // 000000004038: B7270020
	s_add_i32 s52, s52, s53                                    // 00000000403C: 81343534
	s_mov_b32 m0, s68                                          // 000000004040: BEFC0044
	buffer_load_dword v4, s[12:15], s60 offen lds              // 000000004044: E0511000 3C030004
	s_add_u32 m0, 0x880, m0                                    // 00000000404C: 807C7CFF 00000880
	buffer_load_dword v5, s[12:15], s60 offen lds              // 000000004054: E0511000 3C030005
	s_add_u32 m0, 0x880, m0                                    // 00000000405C: 807C7CFF 00000880
	buffer_load_dword v6, s[12:15], s60 offen lds              // 000000004064: E0511000 3C030006
	s_add_u32 m0, 0x880, m0                                    // 00000000406C: 807C7CFF 00000880
	buffer_load_dword v7, s[12:15], s60 offen lds              // 000000004074: E0511000 3C030007
	s_add_u32 m0, 0x880, m0                                    // 00000000407C: 807C7CFF 00000880
	s_add_i32 s60, s43, s60                                    // 000000004084: 813C3C2B
	s_waitcnt vmcnt(8)                                         // 000000004088: BF8C0F78
	s_barrier                                                  // 00000000408C: BF8A0000
	s_cmp_lt_i32 s39, s38                                      // 000000004090: BF042627
	s_cbranch_scc0 label_0A20                                  // 000000004094: BF8406BA
	s_cmp_lt_i32 s5, 4                                         // 000000004098: BF048405
	s_cbranch_scc0 label_06D5                                  // 00000000409C: BF84036D
	buffer_load_dword v228, v8, s[16:19], s35 offen            // 0000000040A0: E0501000 2304E408
	buffer_load_dword v229, v9, s[16:19], s35 offen            // 0000000040A8: E0501000 2304E509
	buffer_load_dword v230, v10, s[16:19], s35 offen           // 0000000040B0: E0501000 2304E60A
	buffer_load_dword v231, v11, s[16:19], s35 offen           // 0000000040B8: E0501000 2304E70B
	s_add_i32 s35, s44, s35                                    // 0000000040C0: 8123232C
	ds_read_b128 v[192:195], v12 offset:8704                   // 0000000040C4: D9FE2200 C000000C
	ds_read_b128 v[196:199], v12 offset:8736                   // 0000000040CC: D9FE2220 C400000C
	ds_read_b128 v[200:203], v12 offset:8768                   // 0000000040D4: D9FE2240 C800000C
	ds_read_b128 v[204:207], v12 offset:8800                   // 0000000040DC: D9FE2260 CC00000C
	ds_read_b128 v[208:211], v12 offset:8832                   // 0000000040E4: D9FE2280 D000000C
	ds_read_b128 v[212:215], v12 offset:8864                   // 0000000040EC: D9FE22A0 D400000C
	ds_read_b128 v[216:219], v12 offset:8896                   // 0000000040F4: D9FE22C0 D800000C
	ds_read_b128 v[220:223], v12 offset:8928                   // 0000000040FC: D9FE22E0 DC00000C
	s_setprio 0                                                // 000000004104: BF8F0000
	s_barrier                                                  // 000000004108: BF8A0000

000000000000410c <label_0383>:
	s_waitcnt lgkmcnt(0)                                       // 00000000410C: BF8CC07F
	v_mfma_f32_32x32x8_bf16 v[80:95], v[192:193], v[160:161], 0// 000000004110: D3E00050 020341C0
	v_exp_f32_e32 v79, v79                                     // 000000004118: 7E9E414F
	v_mul_f32_e32 v22, v20, v22                                // 00000000411C: 0A2C2D14
	v_add_f32_e32 v38, v65, v64                                // 000000004120: 024C8141
	v_add_f32_e32 v38, v66, v38                                // 000000004124: 024C4D42
	v_mfma_f32_32x32x8_bf16 v[80:95], v[194:195], v[162:163], v[80:95]// 000000004128: D3E00050 054345C2
	v_add_f32_e32 v38, v67, v38                                // 000000004130: 024C4D43
	v_add_f32_e32 v38, v68, v38                                // 000000004134: 024C4D44
	v_add_f32_e32 v38, v69, v38                                // 000000004138: 024C4D45
	v_add_f32_e32 v38, v70, v38                                // 00000000413C: 024C4D46
	v_add_f32_e32 v38, v71, v38                                // 000000004140: 024C4D47
	v_add_f32_e32 v38, v72, v38                                // 000000004144: 024C4D48
	v_add_f32_e32 v38, v73, v38                                // 000000004148: 024C4D49
	v_mfma_f32_32x32x8_bf16 v[80:95], v[196:197], v[164:165], v[80:95]// 00000000414C: D3E00050 054349C4
	v_add_f32_e32 v38, v74, v38                                // 000000004154: 024C4D4A
	v_add_f32_e32 v38, v75, v38                                // 000000004158: 024C4D4B
	v_add_f32_e32 v38, v76, v38                                // 00000000415C: 024C4D4C
	v_add_f32_e32 v38, v77, v38                                // 000000004160: 024C4D4D
	v_add_f32_e32 v38, v78, v38                                // 000000004164: 024C4D4E
	v_add_f32_e32 v38, v79, v38                                // 000000004168: 024C4D4F
	v_add_f32_e32 v22, v38, v22                                // 00000000416C: 022C2D26
	v_mfma_f32_32x32x8_bf16 v[80:95], v[198:199], v[166:167], v[80:95]// 000000004170: D3E00050 05434DC6
	v_mul_f32_e32 v96, v20, v96                                // 000000004178: 0AC0C114
	v_mul_f32_e32 v97, v20, v97                                // 00000000417C: 0AC2C314
	v_mul_f32_e32 v98, v20, v98                                // 000000004180: 0AC4C514
	v_mul_f32_e32 v99, v20, v99                                // 000000004184: 0AC6C714
	v_mul_f32_e32 v100, v20, v100                              // 000000004188: 0AC8C914
	v_mul_f32_e32 v101, v20, v101                              // 00000000418C: 0ACACB14
	v_mul_f32_e32 v102, v20, v102                              // 000000004190: 0ACCCD14
	v_mfma_f32_32x32x8_bf16 v[80:95], v[200:201], v[168:169], v[80:95]// 000000004194: D3E00050 054351C8
	v_mul_f32_e32 v103, v20, v103                              // 00000000419C: 0ACECF14
	v_mul_f32_e32 v104, v20, v104                              // 0000000041A0: 0AD0D114
	v_mul_f32_e32 v105, v20, v105                              // 0000000041A4: 0AD2D314
	v_mul_f32_e32 v106, v20, v106                              // 0000000041A8: 0AD4D514
	v_mul_f32_e32 v107, v20, v107                              // 0000000041AC: 0AD6D714
	v_mul_f32_e32 v108, v20, v108                              // 0000000041B0: 0AD8D914
	v_mul_f32_e32 v109, v20, v109                              // 0000000041B4: 0ADADB14
	v_mfma_f32_32x32x8_bf16 v[80:95], v[202:203], v[170:171], v[80:95]// 0000000041B8: D3E00050 054355CA
	v_mul_f32_e32 v110, v20, v110                              // 0000000041C0: 0ADCDD14
	v_mul_f32_e32 v111, v20, v111                              // 0000000041C4: 0ADEDF14
	v_mul_f32_e32 v112, v20, v112                              // 0000000041C8: 0AE0E114
	v_mul_f32_e32 v113, v20, v113                              // 0000000041CC: 0AE2E314
	v_mul_f32_e32 v114, v20, v114                              // 0000000041D0: 0AE4E514
	v_mul_f32_e32 v115, v20, v115                              // 0000000041D4: 0AE6E714
	v_mul_f32_e32 v116, v20, v116                              // 0000000041D8: 0AE8E914
	v_mfma_f32_32x32x8_bf16 v[80:95], v[204:205], v[172:173], v[80:95]// 0000000041DC: D3E00050 054359CC
	v_mul_f32_e32 v117, v20, v117                              // 0000000041E4: 0AEAEB14
	v_mul_f32_e32 v118, v20, v118                              // 0000000041E8: 0AECED14
	v_mul_f32_e32 v119, v20, v119                              // 0000000041EC: 0AEEEF14
	v_mul_f32_e32 v120, v20, v120                              // 0000000041F0: 0AF0F114
	v_mul_f32_e32 v121, v20, v121                              // 0000000041F4: 0AF2F314
	v_mul_f32_e32 v122, v20, v122                              // 0000000041F8: 0AF4F514
	v_mul_f32_e32 v123, v20, v123                              // 0000000041FC: 0AF6F714
	v_mfma_f32_32x32x8_bf16 v[80:95], v[206:207], v[174:175], v[80:95]// 000000004200: D3E00050 05435DCE
	v_mul_f32_e32 v124, v20, v124                              // 000000004208: 0AF8F914
	v_mul_f32_e32 v125, v20, v125                              // 00000000420C: 0AFAFB14
	v_mul_f32_e32 v126, v20, v126                              // 000000004210: 0AFCFD14
	v_mul_f32_e32 v127, v20, v127                              // 000000004214: 0AFEFF14
	v_mul_f32_e32 v128, v20, v128                              // 000000004218: 0B010114
	v_mul_f32_e32 v129, v20, v129                              // 00000000421C: 0B030314
	v_mul_f32_e32 v130, v20, v130                              // 000000004220: 0B050514
	v_mfma_f32_32x32x8_bf16 v[80:95], v[208:209], v[176:177], v[80:95]// 000000004224: D3E00050 054361D0
	v_mul_f32_e32 v131, v20, v131                              // 00000000422C: 0B070714
	v_mul_f32_e32 v132, v20, v132                              // 000000004230: 0B090914
	v_mul_f32_e32 v133, v20, v133                              // 000000004234: 0B0B0B14
	v_mul_f32_e32 v134, v20, v134                              // 000000004238: 0B0D0D14
	v_mul_f32_e32 v135, v20, v135                              // 00000000423C: 0B0F0F14
	v_mul_f32_e32 v136, v20, v136                              // 000000004240: 0B111114
	v_mul_f32_e32 v137, v20, v137                              // 000000004244: 0B131314
	v_mfma_f32_32x32x8_bf16 v[80:95], v[210:211], v[178:179], v[80:95]// 000000004248: D3E00050 054365D2
	v_mul_f32_e32 v138, v20, v138                              // 000000004250: 0B151514
	v_mul_f32_e32 v139, v20, v139                              // 000000004254: 0B171714
	v_mul_f32_e32 v140, v20, v140                              // 000000004258: 0B191914
	v_mul_f32_e32 v141, v20, v141                              // 00000000425C: 0B1B1B14
	v_mul_f32_e32 v142, v20, v142                              // 000000004260: 0B1D1D14
	v_mul_f32_e32 v143, v20, v143                              // 000000004264: 0B1F1F14
	v_mul_f32_e32 v144, v20, v144                              // 000000004268: 0B212114
	v_mfma_f32_32x32x8_bf16 v[80:95], v[212:213], v[180:181], v[80:95]// 00000000426C: D3E00050 054369D4
	v_mul_f32_e32 v145, v20, v145                              // 000000004274: 0B232314
	v_mul_f32_e32 v146, v20, v146                              // 000000004278: 0B252514
	v_mul_f32_e32 v147, v20, v147                              // 00000000427C: 0B272714
	v_mul_f32_e32 v148, v20, v148                              // 000000004280: 0B292914
	v_mul_f32_e32 v149, v20, v149                              // 000000004284: 0B2B2B14
	v_mul_f32_e32 v150, v20, v150                              // 000000004288: 0B2D2D14
	v_mul_f32_e32 v151, v20, v151                              // 00000000428C: 0B2F2F14
	v_mfma_f32_32x32x8_bf16 v[80:95], v[214:215], v[182:183], v[80:95]// 000000004290: D3E00050 05436DD6
	s_waitcnt vmcnt(8)                                         // 000000004298: BF8C0F78
	s_barrier                                                  // 00000000429C: BF8A0000
	v_mfma_f32_32x32x8_bf16 v[80:95], v[216:217], v[184:185], v[80:95]// 0000000042A0: D3E00050 054371D8
	v_mul_f32_e32 v152, v20, v152                              // 0000000042A8: 0B313114
	v_mul_f32_e32 v153, v20, v153                              // 0000000042AC: 0B333314
	v_mul_f32_e32 v154, v20, v154                              // 0000000042B0: 0B353514
	v_mul_f32_e32 v155, v20, v155                              // 0000000042B4: 0B373714
	v_mul_f32_e32 v156, v20, v156                              // 0000000042B8: 0B393914
	v_mul_f32_e32 v157, v20, v157                              // 0000000042BC: 0B3B3B14
	v_mul_f32_e32 v158, v20, v158                              // 0000000042C0: 0B3D3D14
	v_mfma_f32_32x32x8_bf16 v[80:95], v[218:219], v[186:187], v[80:95]// 0000000042C4: D3E00050 054375DA
	v_mul_f32_e32 v159, v20, v159                              // 0000000042CC: 0B3F3F14
	v_perm_b32 v64, v65, v64, s49                              // 0000000042D0: D1ED0040 00C68141
	v_perm_b32 v65, v67, v66, s49                              // 0000000042D8: D1ED0041 00C68543
	v_perm_b32 v66, v69, v68, s49                              // 0000000042E0: D1ED0042 00C68945
	v_mfma_f32_32x32x8_bf16 v[80:95], v[220:221], v[188:189], v[80:95]// 0000000042E8: D3E00050 054379DC
	v_perm_b32 v67, v71, v70, s49                              // 0000000042F0: D1ED0043 00C68D47
	v_perm_b32 v68, v73, v72, s49                              // 0000000042F8: D1ED0044 00C69149
	v_perm_b32 v69, v75, v74, s49                              // 000000004300: D1ED0045 00C6954B
	v_perm_b32 v70, v77, v76, s49                              // 000000004308: D1ED0046 00C6994D
	v_perm_b32 v71, v79, v78, s49                              // 000000004310: D1ED0047 00C69D4F
	v_mfma_f32_32x32x8_bf16 v[80:95], v[222:223], v[190:191], v[80:95]// 000000004318: D3E00050 05437DDE
	v_perm_b32 v232, v225, v224, s50                           // 000000004320: D1ED00E8 00CBC1E1
	v_perm_b32 v234, v225, v224, s49                           // 000000004328: D1ED00EA 00C7C1E1
	v_perm_b32 v233, v227, v226, s50                           // 000000004330: D1ED00E9 00CBC5E3
	v_perm_b32 v235, v227, v226, s49                           // 000000004338: D1ED00EB 00C7C5E3
	s_barrier                                                  // 000000004340: BF8A0000
	ds_write_b64 v14, v[232:233] offset:17408                  // 000000004344: D89A4400 0000E80E
	ds_write_b64 v14, v[234:235] offset:21568                  // 00000000434C: D89A5440 0000EA0E
	s_waitcnt lgkmcnt(0)                                       // 000000004354: BF8CC07F
	s_barrier                                                  // 000000004358: BF8A0000
	s_mov_b32 m0, s69                                          // 00000000435C: BEFC0045
	ds_read_b64 v[192:193], v13 offset:17408                   // 000000004360: D8EC4400 C000000D
	ds_read_b64 v[194:195], v13 offset:18432                   // 000000004368: D8EC4800 C200000D
	ds_read_b64 v[196:197], v13 offset:19456                   // 000000004370: D8EC4C00 C400000D
	ds_read_b64 v[198:199], v13 offset:20480                   // 000000004378: D8EC5000 C600000D
	buffer_load_dword v4, s[12:15], s60 offen lds              // 000000004380: E0511000 3C030004
	s_add_u32 m0, 0x880, m0                                    // 000000004388: 807C7CFF 00000880
	ds_read_b64 v[200:201], v13 offset:17536                   // 000000004390: D8EC4480 C800000D
	ds_read_b64 v[202:203], v13 offset:18560                   // 000000004398: D8EC4880 CA00000D
	ds_read_b64 v[204:205], v13 offset:19584                   // 0000000043A0: D8EC4C80 CC00000D
	ds_read_b64 v[206:207], v13 offset:20608                   // 0000000043A8: D8EC5080 CE00000D
	buffer_load_dword v5, s[12:15], s60 offen lds              // 0000000043B0: E0511000 3C030005
	s_add_u32 m0, 0x880, m0                                    // 0000000043B8: 807C7CFF 00000880
	ds_read_b64 v[208:209], v13 offset:17664                   // 0000000043C0: D8EC4500 D000000D
	ds_read_b64 v[210:211], v13 offset:18688                   // 0000000043C8: D8EC4900 D200000D
	ds_read_b64 v[212:213], v13 offset:19712                   // 0000000043D0: D8EC4D00 D400000D
	ds_read_b64 v[214:215], v13 offset:20736                   // 0000000043D8: D8EC5100 D600000D
	buffer_load_dword v6, s[12:15], s60 offen lds              // 0000000043E0: E0511000 3C030006
	s_add_u32 m0, 0x880, m0                                    // 0000000043E8: 807C7CFF 00000880
	ds_read_b64 v[216:217], v13 offset:17792                   // 0000000043F0: D8EC4580 D800000D
	ds_read_b64 v[218:219], v13 offset:18816                   // 0000000043F8: D8EC4980 DA00000D
	ds_read_b64 v[220:221], v13 offset:19840                   // 000000004400: D8EC4D80 DC00000D
	ds_read_b64 v[222:223], v13 offset:20864                   // 000000004408: D8EC5180 DE00000D
	buffer_load_dword v7, s[12:15], s60 offen lds              // 000000004410: E0511000 3C030007
	s_add_u32 m0, 0x880, m0                                    // 000000004418: 807C7CFF 00000880
	s_add_i32 s60, s43, s60                                    // 000000004420: 813C3C2B
	s_add_u32 s40, 0x80, s39                                   // 000000004424: 802827FF 00000080
	s_cmp_lt_u32 s40, s38                                      // 00000000442C: BF0A2628
	s_cselect_b32 s43, s43, 0                                  // 000000004430: 852B802B
	s_nop 0                                                    // 000000004434: BF800000
	s_cmp_lt_i32 s52, s54                                      // 000000004438: BF043634
	s_cbranch_scc1 label_0493                                  // 00000000443C: BF850043
	s_sub_i32 s40, s7, s52                                     // 000000004440: 81A83407
	v_sub_i32 v16, s40, v30                                    // 000000004444: D29D0010 00023C28
	v_cmp_lt_i32_e64 s[72:73], 0, v16                          // 00000000444C: D0C10048 00022080
	v_cmp_lt_i32_e64 s[74:75], 1, v16                          // 000000004454: D0C1004A 00022081
	v_cndmask_b32_e64 v80, v31, v80, s[72:73]                  // 00000000445C: D1000050 0122A11F
	v_cndmask_b32_e64 v81, v31, v81, s[74:75]                  // 000000004464: D1000051 012AA31F
	v_cmp_lt_i32_e64 s[72:73], 2, v16                          // 00000000446C: D0C10048 00022082
	v_cmp_lt_i32_e64 s[74:75], 3, v16                          // 000000004474: D0C1004A 00022083
	v_cndmask_b32_e64 v82, v31, v82, s[72:73]                  // 00000000447C: D1000052 0122A51F
	v_cndmask_b32_e64 v83, v31, v83, s[74:75]                  // 000000004484: D1000053 012AA71F
	v_cmp_lt_i32_e64 s[72:73], 8, v16                          // 00000000448C: D0C10048 00022088
	v_cmp_lt_i32_e64 s[74:75], 9, v16                          // 000000004494: D0C1004A 00022089
	v_cndmask_b32_e64 v84, v31, v84, s[72:73]                  // 00000000449C: D1000054 0122A91F
	v_cndmask_b32_e64 v85, v31, v85, s[74:75]                  // 0000000044A4: D1000055 012AAB1F
	v_cmp_lt_i32_e64 s[72:73], 10, v16                         // 0000000044AC: D0C10048 0002208A
	v_cmp_lt_i32_e64 s[74:75], 11, v16                         // 0000000044B4: D0C1004A 0002208B
	v_cndmask_b32_e64 v86, v31, v86, s[72:73]                  // 0000000044BC: D1000056 0122AD1F
	v_cndmask_b32_e64 v87, v31, v87, s[74:75]                  // 0000000044C4: D1000057 012AAF1F
	v_cmp_lt_i32_e64 s[72:73], 16, v16                         // 0000000044CC: D0C10048 00022090
	v_cmp_lt_i32_e64 s[74:75], 17, v16                         // 0000000044D4: D0C1004A 00022091
	v_cndmask_b32_e64 v88, v31, v88, s[72:73]                  // 0000000044DC: D1000058 0122B11F
	v_cndmask_b32_e64 v89, v31, v89, s[74:75]                  // 0000000044E4: D1000059 012AB31F
	v_cmp_lt_i32_e64 s[72:73], 18, v16                         // 0000000044EC: D0C10048 00022092
	v_cmp_lt_i32_e64 s[74:75], 19, v16                         // 0000000044F4: D0C1004A 00022093
	v_cndmask_b32_e64 v90, v31, v90, s[72:73]                  // 0000000044FC: D100005A 0122B51F
	v_cndmask_b32_e64 v91, v31, v91, s[74:75]                  // 000000004504: D100005B 012AB71F
	v_cmp_lt_i32_e64 s[72:73], 24, v16                         // 00000000450C: D0C10048 00022098
	v_cmp_lt_i32_e64 s[74:75], 25, v16                         // 000000004514: D0C1004A 00022099
	v_cndmask_b32_e64 v92, v31, v92, s[72:73]                  // 00000000451C: D100005C 0122B91F
	v_cndmask_b32_e64 v93, v31, v93, s[74:75]                  // 000000004524: D100005D 012ABB1F
	v_cmp_lt_i32_e64 s[72:73], 26, v16                         // 00000000452C: D0C10048 0002209A
	v_cmp_lt_i32_e64 s[74:75], 27, v16                         // 000000004534: D0C1004A 0002209B
	v_cndmask_b32_e64 v94, v31, v94, s[72:73]                  // 00000000453C: D100005E 0122BD1F
	v_cndmask_b32_e64 v95, v31, v95, s[74:75]                  // 000000004544: D100005F 012ABF1F

000000000000454c <label_0493>:
	s_nop 0                                                    // 00000000454C: BF800000
	s_waitcnt lgkmcnt(0)                                       // 000000004550: BF8CC07F
	s_barrier                                                  // 000000004554: BF8A0000
	v_mfma_f32_32x32x8_bf16 v[96:111], v[192:193], v[64:65], v[96:111]// 000000004558: D3E00060 058281C0
	v_max3_f32 v25, v80, v81, v28                              // 000000004560: D1D30019 0472A350
	v_max3_f32 v25, v82, v83, v25                              // 000000004568: D1D30019 0466A752
	v_max3_f32 v25, v84, v85, v25                              // 000000004570: D1D30019 0466AB54
	v_max3_f32 v25, v86, v87, v25                              // 000000004578: D1D30019 0466AF56
	v_max3_f32 v25, v88, v89, v25                              // 000000004580: D1D30019 0466B358
	v_max3_f32 v25, v90, v91, v25                              // 000000004588: D1D30019 0466B75A
	v_max3_f32 v25, v92, v93, v25                              // 000000004590: D1D30019 0466BB5C
	v_mfma_f32_32x32x8_bf16 v[96:111], v[194:195], v[66:67], v[96:111]// 000000004598: D3E00060 058285C2
	v_max3_f32 v25, v94, v95, v25                              // 0000000045A0: D1D30019 0466BF5E
	ds_permute_b32 v24, v32, v25                               // 0000000045A8: D87C0000 18001920
	v_mfma_f32_32x32x8_bf16 v[96:111], v[196:197], v[68:69], v[96:111]// 0000000045B0: D3E00060 058289C4
	v_nop                                                      // 0000000045B8: 7E000000
	s_nop 0                                                    // 0000000045BC: BF800000
	v_mfma_f32_32x32x8_bf16 v[96:111], v[198:199], v[70:71], v[96:111]// 0000000045C0: D3E00060 05828DC6
	v_nop                                                      // 0000000045C8: 7E000000
	v_mfma_f32_32x32x8_bf16 v[112:127], v[200:201], v[64:65], v[112:127]// 0000000045CC: D3E00070 05C281C8
	s_waitcnt lgkmcnt(0)                                       // 0000000045D4: BF8CC07F
	v_max_f32_e32 v25, v24, v25                                // 0000000045D8: 16323318
	v_sub_f32_e32 v20, v28, v25                                // 0000000045DC: 0428331C
	v_mov_b32_e32 v28, v25                                     // 0000000045E0: 7E380319
	v_mul_f32_e32 v27, s56, v25                                // 0000000045E4: 0A363238
	v_mul_f32_e32 v20, s56, v20                                // 0000000045E8: 0A282838
	v_mfma_f32_32x32x8_bf16 v[112:127], v[202:203], v[66:67], v[112:127]// 0000000045EC: D3E00070 05C285CA
	v_exp_f32_e32 v20, v20                                     // 0000000045F4: 7E284114
	v_fma_f32 v80, v80, s56, -v27                              // 0000000045F8: D1CB0050 846C7150
	v_fma_f32 v81, v81, s56, -v27                              // 000000004600: D1CB0051 846C7151
	v_fma_f32 v82, v82, s56, -v27                              // 000000004608: D1CB0052 846C7152
	v_mfma_f32_32x32x8_bf16 v[112:127], v[204:205], v[68:69], v[112:127]// 000000004610: D3E00070 05C289CC
	v_fma_f32 v83, v83, s56, -v27                              // 000000004618: D1CB0053 846C7153
	v_fma_f32 v84, v84, s56, -v27                              // 000000004620: D1CB0054 846C7154
	v_fma_f32 v85, v85, s56, -v27                              // 000000004628: D1CB0055 846C7155
	v_fma_f32 v86, v86, s56, -v27                              // 000000004630: D1CB0056 846C7156
	v_fma_f32 v87, v87, s56, -v27                              // 000000004638: D1CB0057 846C7157
	v_fma_f32 v88, v88, s56, -v27                              // 000000004640: D1CB0058 846C7158
	v_fma_f32 v89, v89, s56, -v27                              // 000000004648: D1CB0059 846C7159
	v_mfma_f32_32x32x8_bf16 v[112:127], v[206:207], v[70:71], v[112:127]// 000000004650: D3E00070 05C28DCE
	v_fma_f32 v90, v90, s56, -v27                              // 000000004658: D1CB005A 846C715A
	v_fma_f32 v91, v91, s56, -v27                              // 000000004660: D1CB005B 846C715B
	v_fma_f32 v92, v92, s56, -v27                              // 000000004668: D1CB005C 846C715C
	v_fma_f32 v93, v93, s56, -v27                              // 000000004670: D1CB005D 846C715D
	v_fma_f32 v94, v94, s56, -v27                              // 000000004678: D1CB005E 846C715E
	v_fma_f32 v95, v95, s56, -v27                              // 000000004680: D1CB005F 846C715F
	v_exp_f32_e32 v80, v80                                     // 000000004688: 7EA04150
	v_mfma_f32_32x32x8_bf16 v[128:143], v[208:209], v[64:65], v[128:143]// 00000000468C: D3E00080 060281D0
	v_exp_f32_e32 v81, v81                                     // 000000004694: 7EA24151
	v_exp_f32_e32 v82, v82                                     // 000000004698: 7EA44152
	v_mfma_f32_32x32x8_bf16 v[128:143], v[210:211], v[66:67], v[128:143]// 00000000469C: D3E00080 060285D2
	v_exp_f32_e32 v83, v83                                     // 0000000046A4: 7EA64153
	v_exp_f32_e32 v84, v84                                     // 0000000046A8: 7EA84154
	v_mfma_f32_32x32x8_bf16 v[128:143], v[212:213], v[68:69], v[128:143]// 0000000046AC: D3E00080 060289D4
	v_exp_f32_e32 v85, v85                                     // 0000000046B4: 7EAA4155
	v_exp_f32_e32 v86, v86                                     // 0000000046B8: 7EAC4156
	v_mfma_f32_32x32x8_bf16 v[128:143], v[214:215], v[70:71], v[128:143]// 0000000046BC: D3E00080 06028DD6
	v_exp_f32_e32 v87, v87                                     // 0000000046C4: 7EAE4157
	v_exp_f32_e32 v88, v88                                     // 0000000046C8: 7EB04158
	v_mfma_f32_32x32x8_bf16 v[144:159], v[216:217], v[64:65], v[144:159]// 0000000046CC: D3E00090 064281D8
	v_exp_f32_e32 v89, v89                                     // 0000000046D4: 7EB24159
	v_exp_f32_e32 v90, v90                                     // 0000000046D8: 7EB4415A
	v_mfma_f32_32x32x8_bf16 v[144:159], v[218:219], v[66:67], v[144:159]// 0000000046DC: D3E00090 064285DA
	v_exp_f32_e32 v91, v91                                     // 0000000046E4: 7EB6415B
	v_exp_f32_e32 v92, v92                                     // 0000000046E8: 7EB8415C
	v_mfma_f32_32x32x8_bf16 v[144:159], v[220:221], v[68:69], v[144:159]// 0000000046EC: D3E00090 064289DC
	v_exp_f32_e32 v93, v93                                     // 0000000046F4: 7EBA415D
	v_exp_f32_e32 v94, v94                                     // 0000000046F8: 7EBC415E
	v_mfma_f32_32x32x8_bf16 v[144:159], v[222:223], v[70:71], v[144:159]// 0000000046FC: D3E00090 06428DDE
	s_waitcnt vmcnt(8)                                         // 000000004704: BF8C0F78
	s_barrier                                                  // 000000004708: BF8A0000
	s_nop 11                                                   // 00000000470C: BF80000B
	s_nop 11                                                   // 000000004710: BF80000B
	ds_read_b128 v[192:195], v12                               // 000000004714: D9FE0000 C000000C
	ds_read_b128 v[196:199], v12 offset:32                     // 00000000471C: D9FE0020 C400000C
	ds_read_b128 v[200:203], v12 offset:64                     // 000000004724: D9FE0040 C800000C
	ds_read_b128 v[204:207], v12 offset:96                     // 00000000472C: D9FE0060 CC00000C
	s_nop 15                                                   // 000000004734: BF80000F
	s_nop 15                                                   // 000000004738: BF80000F
	s_nop 10                                                   // 00000000473C: BF80000A
	buffer_load_dword v224, v8, s[16:19], s35 offen            // 000000004740: E0501000 2304E008
	ds_read_b128 v[208:211], v12 offset:128                    // 000000004748: D9FE0080 D000000C
	ds_read_b128 v[212:215], v12 offset:160                    // 000000004750: D9FE00A0 D400000C
	buffer_load_dword v225, v9, s[16:19], s35 offen            // 000000004758: E0501000 2304E109
	ds_read_b128 v[216:219], v12 offset:192                    // 000000004760: D9FE00C0 D800000C
	ds_read_b128 v[220:223], v12 offset:224                    // 000000004768: D9FE00E0 DC00000C
	buffer_load_dword v226, v10, s[16:19], s35 offen           // 000000004770: E0501000 2304E20A
	buffer_load_dword v227, v11, s[16:19], s35 offen           // 000000004778: E0501000 2304E30B
	s_add_i32 s35, s44, s35                                    // 000000004780: 8123232C
	s_add_u32 s40, 0x60, s39                                   // 000000004784: 802827FF 00000060
	s_nop 0                                                    // 00000000478C: BF800000
	s_cmp_lt_u32 s40, s38                                      // 000000004790: BF0A2628
	s_cselect_b32 s44, s44, 0                                  // 000000004794: 852C802C
	s_add_i32 s52, s52, s53                                    // 000000004798: 81343534
	s_addk_i32 s39, 0x20                                       // 00000000479C: B7270020
	s_cmp_lt_i32 s39, s38                                      // 0000000047A0: BF042627
	s_nop 0                                                    // 0000000047A4: BF800000
	s_cbranch_scc0 label_0A20                                  // 0000000047A8: BF8404F5
	s_waitcnt lgkmcnt(0)                                       // 0000000047AC: BF8CC07F
	v_mfma_f32_32x32x8_bf16 v[64:79], v[192:193], v[160:161], 0// 0000000047B0: D3E00040 020341C0
	v_exp_f32_e32 v95, v95                                     // 0000000047B8: 7EBE415F
	v_mul_f32_e32 v22, v20, v22                                // 0000000047BC: 0A2C2D14
	v_add_f32_e32 v38, v81, v80                                // 0000000047C0: 024CA151
	v_add_f32_e32 v38, v82, v38                                // 0000000047C4: 024C4D52
	v_mfma_f32_32x32x8_bf16 v[64:79], v[194:195], v[162:163], v[64:79]// 0000000047C8: D3E00040 050345C2
	v_add_f32_e32 v38, v83, v38                                // 0000000047D0: 024C4D53
	v_add_f32_e32 v38, v84, v38                                // 0000000047D4: 024C4D54
	v_add_f32_e32 v38, v85, v38                                // 0000000047D8: 024C4D55
	v_add_f32_e32 v38, v86, v38                                // 0000000047DC: 024C4D56
	v_add_f32_e32 v38, v87, v38                                // 0000000047E0: 024C4D57
	v_add_f32_e32 v38, v88, v38                                // 0000000047E4: 024C4D58
	v_add_f32_e32 v38, v89, v38                                // 0000000047E8: 024C4D59
	v_mfma_f32_32x32x8_bf16 v[64:79], v[196:197], v[164:165], v[64:79]// 0000000047EC: D3E00040 050349C4
	v_add_f32_e32 v38, v90, v38                                // 0000000047F4: 024C4D5A
	v_add_f32_e32 v38, v91, v38                                // 0000000047F8: 024C4D5B
	v_add_f32_e32 v38, v92, v38                                // 0000000047FC: 024C4D5C
	v_add_f32_e32 v38, v93, v38                                // 000000004800: 024C4D5D
	v_add_f32_e32 v38, v94, v38                                // 000000004804: 024C4D5E
	v_add_f32_e32 v38, v95, v38                                // 000000004808: 024C4D5F
	v_add_f32_e32 v22, v38, v22                                // 00000000480C: 022C2D26
	v_mfma_f32_32x32x8_bf16 v[64:79], v[198:199], v[166:167], v[64:79]// 000000004810: D3E00040 05034DC6
	v_mul_f32_e32 v96, v20, v96                                // 000000004818: 0AC0C114
	v_mul_f32_e32 v97, v20, v97                                // 00000000481C: 0AC2C314
	v_mul_f32_e32 v98, v20, v98                                // 000000004820: 0AC4C514
	v_mul_f32_e32 v99, v20, v99                                // 000000004824: 0AC6C714
	v_mul_f32_e32 v100, v20, v100                              // 000000004828: 0AC8C914
	v_mul_f32_e32 v101, v20, v101                              // 00000000482C: 0ACACB14
	v_mul_f32_e32 v102, v20, v102                              // 000000004830: 0ACCCD14
	v_mfma_f32_32x32x8_bf16 v[64:79], v[200:201], v[168:169], v[64:79]// 000000004834: D3E00040 050351C8
	v_mul_f32_e32 v103, v20, v103                              // 00000000483C: 0ACECF14
	v_mul_f32_e32 v104, v20, v104                              // 000000004840: 0AD0D114
	v_mul_f32_e32 v105, v20, v105                              // 000000004844: 0AD2D314
	v_mul_f32_e32 v106, v20, v106                              // 000000004848: 0AD4D514
	v_mul_f32_e32 v107, v20, v107                              // 00000000484C: 0AD6D714
	v_mul_f32_e32 v108, v20, v108                              // 000000004850: 0AD8D914
	v_mul_f32_e32 v109, v20, v109                              // 000000004854: 0ADADB14
	v_mfma_f32_32x32x8_bf16 v[64:79], v[202:203], v[170:171], v[64:79]// 000000004858: D3E00040 050355CA
	v_mul_f32_e32 v110, v20, v110                              // 000000004860: 0ADCDD14
	v_mul_f32_e32 v111, v20, v111                              // 000000004864: 0ADEDF14
	v_mul_f32_e32 v112, v20, v112                              // 000000004868: 0AE0E114
	v_mul_f32_e32 v113, v20, v113                              // 00000000486C: 0AE2E314
	v_mul_f32_e32 v114, v20, v114                              // 000000004870: 0AE4E514
	v_mul_f32_e32 v115, v20, v115                              // 000000004874: 0AE6E714
	v_mul_f32_e32 v116, v20, v116                              // 000000004878: 0AE8E914
	v_mfma_f32_32x32x8_bf16 v[64:79], v[204:205], v[172:173], v[64:79]// 00000000487C: D3E00040 050359CC
	v_mul_f32_e32 v117, v20, v117                              // 000000004884: 0AEAEB14
	v_mul_f32_e32 v118, v20, v118                              // 000000004888: 0AECED14
	v_mul_f32_e32 v119, v20, v119                              // 00000000488C: 0AEEEF14
	v_mul_f32_e32 v120, v20, v120                              // 000000004890: 0AF0F114
	v_mul_f32_e32 v121, v20, v121                              // 000000004894: 0AF2F314
	v_mul_f32_e32 v122, v20, v122                              // 000000004898: 0AF4F514
	v_mul_f32_e32 v123, v20, v123                              // 00000000489C: 0AF6F714
	v_mfma_f32_32x32x8_bf16 v[64:79], v[206:207], v[174:175], v[64:79]// 0000000048A0: D3E00040 05035DCE
	v_mul_f32_e32 v124, v20, v124                              // 0000000048A8: 0AF8F914
	v_mul_f32_e32 v125, v20, v125                              // 0000000048AC: 0AFAFB14
	v_mul_f32_e32 v126, v20, v126                              // 0000000048B0: 0AFCFD14
	v_mul_f32_e32 v127, v20, v127                              // 0000000048B4: 0AFEFF14
	v_mul_f32_e32 v128, v20, v128                              // 0000000048B8: 0B010114
	v_mul_f32_e32 v129, v20, v129                              // 0000000048BC: 0B030314
	v_mul_f32_e32 v130, v20, v130                              // 0000000048C0: 0B050514
	v_mfma_f32_32x32x8_bf16 v[64:79], v[208:209], v[176:177], v[64:79]// 0000000048C4: D3E00040 050361D0
	v_mul_f32_e32 v131, v20, v131                              // 0000000048CC: 0B070714
	v_mul_f32_e32 v132, v20, v132                              // 0000000048D0: 0B090914
	v_mul_f32_e32 v133, v20, v133                              // 0000000048D4: 0B0B0B14
	v_mul_f32_e32 v134, v20, v134                              // 0000000048D8: 0B0D0D14
	v_mul_f32_e32 v135, v20, v135                              // 0000000048DC: 0B0F0F14
	v_mul_f32_e32 v136, v20, v136                              // 0000000048E0: 0B111114
	v_mul_f32_e32 v137, v20, v137                              // 0000000048E4: 0B131314
	v_mfma_f32_32x32x8_bf16 v[64:79], v[210:211], v[178:179], v[64:79]// 0000000048E8: D3E00040 050365D2
	v_mul_f32_e32 v138, v20, v138                              // 0000000048F0: 0B151514
	v_mul_f32_e32 v139, v20, v139                              // 0000000048F4: 0B171714
	v_mul_f32_e32 v140, v20, v140                              // 0000000048F8: 0B191914
	v_mul_f32_e32 v141, v20, v141                              // 0000000048FC: 0B1B1B14
	v_mul_f32_e32 v142, v20, v142                              // 000000004900: 0B1D1D14
	v_mul_f32_e32 v143, v20, v143                              // 000000004904: 0B1F1F14
	v_mul_f32_e32 v144, v20, v144                              // 000000004908: 0B212114
	v_mfma_f32_32x32x8_bf16 v[64:79], v[212:213], v[180:181], v[64:79]// 00000000490C: D3E00040 050369D4
	v_mul_f32_e32 v145, v20, v145                              // 000000004914: 0B232314
	v_mul_f32_e32 v146, v20, v146                              // 000000004918: 0B252514
	v_mul_f32_e32 v147, v20, v147                              // 00000000491C: 0B272714
	v_mul_f32_e32 v148, v20, v148                              // 000000004920: 0B292914
	v_mul_f32_e32 v149, v20, v149                              // 000000004924: 0B2B2B14
	v_mul_f32_e32 v150, v20, v150                              // 000000004928: 0B2D2D14
	v_mul_f32_e32 v151, v20, v151                              // 00000000492C: 0B2F2F14
	v_mfma_f32_32x32x8_bf16 v[64:79], v[214:215], v[182:183], v[64:79]// 000000004930: D3E00040 05036DD6
	s_waitcnt vmcnt(8)                                         // 000000004938: BF8C0F78
	s_barrier                                                  // 00000000493C: BF8A0000
	v_mfma_f32_32x32x8_bf16 v[64:79], v[216:217], v[184:185], v[64:79]// 000000004940: D3E00040 050371D8
	v_mul_f32_e32 v152, v20, v152                              // 000000004948: 0B313114
	v_mul_f32_e32 v153, v20, v153                              // 00000000494C: 0B333314
	v_mul_f32_e32 v154, v20, v154                              // 000000004950: 0B353514
	v_mul_f32_e32 v155, v20, v155                              // 000000004954: 0B373714
	v_mul_f32_e32 v156, v20, v156                              // 000000004958: 0B393914
	v_mul_f32_e32 v157, v20, v157                              // 00000000495C: 0B3B3B14
	v_mul_f32_e32 v158, v20, v158                              // 000000004960: 0B3D3D14
	v_mfma_f32_32x32x8_bf16 v[64:79], v[218:219], v[186:187], v[64:79]// 000000004964: D3E00040 050375DA
	v_mul_f32_e32 v159, v20, v159                              // 00000000496C: 0B3F3F14
	v_perm_b32 v80, v81, v80, s49                              // 000000004970: D1ED0050 00C6A151
	v_perm_b32 v81, v83, v82, s49                              // 000000004978: D1ED0051 00C6A553
	v_perm_b32 v82, v85, v84, s49                              // 000000004980: D1ED0052 00C6A955
	v_mfma_f32_32x32x8_bf16 v[64:79], v[220:221], v[188:189], v[64:79]// 000000004988: D3E00040 050379DC
	v_perm_b32 v83, v87, v86, s49                              // 000000004990: D1ED0053 00C6AD57
	v_perm_b32 v84, v89, v88, s49                              // 000000004998: D1ED0054 00C6B159
	v_perm_b32 v85, v91, v90, s49                              // 0000000049A0: D1ED0055 00C6B55B
	v_perm_b32 v86, v93, v92, s49                              // 0000000049A8: D1ED0056 00C6B95D
	v_perm_b32 v87, v95, v94, s49                              // 0000000049B0: D1ED0057 00C6BD5F
	v_mfma_f32_32x32x8_bf16 v[64:79], v[222:223], v[190:191], v[64:79]// 0000000049B8: D3E00040 05037DDE
	v_perm_b32 v232, v229, v228, s50                           // 0000000049C0: D1ED00E8 00CBC9E5
	v_perm_b32 v234, v229, v228, s49                           // 0000000049C8: D1ED00EA 00C7C9E5
	v_perm_b32 v233, v231, v230, s50                           // 0000000049D0: D1ED00E9 00CBCDE7
	v_perm_b32 v235, v231, v230, s49                           // 0000000049D8: D1ED00EB 00C7CDE7
	s_barrier                                                  // 0000000049E0: BF8A0000
	ds_write_b64 v14, v[232:233] offset:17408                  // 0000000049E4: D89A4400 0000E80E
	ds_write_b64 v14, v[234:235] offset:21568                  // 0000000049EC: D89A5440 0000EA0E
	s_waitcnt lgkmcnt(0)                                       // 0000000049F4: BF8CC07F
	s_barrier                                                  // 0000000049F8: BF8A0000
	s_mov_b32 m0, s68                                          // 0000000049FC: BEFC0044
	ds_read_b64 v[192:193], v13 offset:17408                   // 000000004A00: D8EC4400 C000000D
	ds_read_b64 v[194:195], v13 offset:18432                   // 000000004A08: D8EC4800 C200000D
	ds_read_b64 v[196:197], v13 offset:19456                   // 000000004A10: D8EC4C00 C400000D
	ds_read_b64 v[198:199], v13 offset:20480                   // 000000004A18: D8EC5000 C600000D
	buffer_load_dword v4, s[12:15], s60 offen lds              // 000000004A20: E0511000 3C030004
	s_add_u32 m0, 0x880, m0                                    // 000000004A28: 807C7CFF 00000880
	ds_read_b64 v[200:201], v13 offset:17536                   // 000000004A30: D8EC4480 C800000D
	ds_read_b64 v[202:203], v13 offset:18560                   // 000000004A38: D8EC4880 CA00000D
	ds_read_b64 v[204:205], v13 offset:19584                   // 000000004A40: D8EC4C80 CC00000D
	ds_read_b64 v[206:207], v13 offset:20608                   // 000000004A48: D8EC5080 CE00000D
	buffer_load_dword v5, s[12:15], s60 offen lds              // 000000004A50: E0511000 3C030005
	s_add_u32 m0, 0x880, m0                                    // 000000004A58: 807C7CFF 00000880
	ds_read_b64 v[208:209], v13 offset:17664                   // 000000004A60: D8EC4500 D000000D
	ds_read_b64 v[210:211], v13 offset:18688                   // 000000004A68: D8EC4900 D200000D
	ds_read_b64 v[212:213], v13 offset:19712                   // 000000004A70: D8EC4D00 D400000D
	ds_read_b64 v[214:215], v13 offset:20736                   // 000000004A78: D8EC5100 D600000D
	buffer_load_dword v6, s[12:15], s60 offen lds              // 000000004A80: E0511000 3C030006
	s_add_u32 m0, 0x880, m0                                    // 000000004A88: 807C7CFF 00000880
	ds_read_b64 v[216:217], v13 offset:17792                   // 000000004A90: D8EC4580 D800000D
	ds_read_b64 v[218:219], v13 offset:18816                   // 000000004A98: D8EC4980 DA00000D
	ds_read_b64 v[220:221], v13 offset:19840                   // 000000004AA0: D8EC4D80 DC00000D
	ds_read_b64 v[222:223], v13 offset:20864                   // 000000004AA8: D8EC5180 DE00000D
	buffer_load_dword v7, s[12:15], s60 offen lds              // 000000004AB0: E0511000 3C030007
	s_add_u32 m0, 0x880, m0                                    // 000000004AB8: 807C7CFF 00000880
	s_add_i32 s60, s43, s60                                    // 000000004AC0: 813C3C2B
	s_add_u32 s40, 0x80, s39                                   // 000000004AC4: 802827FF 00000080
	s_cmp_lt_u32 s40, s38                                      // 000000004ACC: BF0A2628
	s_cselect_b32 s43, s43, 0                                  // 000000004AD0: 852B802B
	s_nop 0                                                    // 000000004AD4: BF800000
	s_cmp_lt_i32 s52, s54                                      // 000000004AD8: BF043634
	s_cbranch_scc1 label_063B                                  // 000000004ADC: BF850043
	s_sub_i32 s40, s7, s52                                     // 000000004AE0: 81A83407
	v_sub_i32 v16, s40, v30                                    // 000000004AE4: D29D0010 00023C28
	v_cmp_lt_i32_e64 s[72:73], 0, v16                          // 000000004AEC: D0C10048 00022080
	v_cmp_lt_i32_e64 s[74:75], 1, v16                          // 000000004AF4: D0C1004A 00022081
	v_cndmask_b32_e64 v64, v31, v64, s[72:73]                  // 000000004AFC: D1000040 0122811F
	v_cndmask_b32_e64 v65, v31, v65, s[74:75]                  // 000000004B04: D1000041 012A831F
	v_cmp_lt_i32_e64 s[72:73], 2, v16                          // 000000004B0C: D0C10048 00022082
	v_cmp_lt_i32_e64 s[74:75], 3, v16                          // 000000004B14: D0C1004A 00022083
	v_cndmask_b32_e64 v66, v31, v66, s[72:73]                  // 000000004B1C: D1000042 0122851F
	v_cndmask_b32_e64 v67, v31, v67, s[74:75]                  // 000000004B24: D1000043 012A871F
	v_cmp_lt_i32_e64 s[72:73], 8, v16                          // 000000004B2C: D0C10048 00022088
	v_cmp_lt_i32_e64 s[74:75], 9, v16                          // 000000004B34: D0C1004A 00022089
	v_cndmask_b32_e64 v68, v31, v68, s[72:73]                  // 000000004B3C: D1000044 0122891F
	v_cndmask_b32_e64 v69, v31, v69, s[74:75]                  // 000000004B44: D1000045 012A8B1F
	v_cmp_lt_i32_e64 s[72:73], 10, v16                         // 000000004B4C: D0C10048 0002208A
	v_cmp_lt_i32_e64 s[74:75], 11, v16                         // 000000004B54: D0C1004A 0002208B
	v_cndmask_b32_e64 v70, v31, v70, s[72:73]                  // 000000004B5C: D1000046 01228D1F
	v_cndmask_b32_e64 v71, v31, v71, s[74:75]                  // 000000004B64: D1000047 012A8F1F
	v_cmp_lt_i32_e64 s[72:73], 16, v16                         // 000000004B6C: D0C10048 00022090
	v_cmp_lt_i32_e64 s[74:75], 17, v16                         // 000000004B74: D0C1004A 00022091
	v_cndmask_b32_e64 v72, v31, v72, s[72:73]                  // 000000004B7C: D1000048 0122911F
	v_cndmask_b32_e64 v73, v31, v73, s[74:75]                  // 000000004B84: D1000049 012A931F
	v_cmp_lt_i32_e64 s[72:73], 18, v16                         // 000000004B8C: D0C10048 00022092
	v_cmp_lt_i32_e64 s[74:75], 19, v16                         // 000000004B94: D0C1004A 00022093
	v_cndmask_b32_e64 v74, v31, v74, s[72:73]                  // 000000004B9C: D100004A 0122951F
	v_cndmask_b32_e64 v75, v31, v75, s[74:75]                  // 000000004BA4: D100004B 012A971F
	v_cmp_lt_i32_e64 s[72:73], 24, v16                         // 000000004BAC: D0C10048 00022098
	v_cmp_lt_i32_e64 s[74:75], 25, v16                         // 000000004BB4: D0C1004A 00022099
	v_cndmask_b32_e64 v76, v31, v76, s[72:73]                  // 000000004BBC: D100004C 0122991F
	v_cndmask_b32_e64 v77, v31, v77, s[74:75]                  // 000000004BC4: D100004D 012A9B1F
	v_cmp_lt_i32_e64 s[72:73], 26, v16                         // 000000004BCC: D0C10048 0002209A
	v_cmp_lt_i32_e64 s[74:75], 27, v16                         // 000000004BD4: D0C1004A 0002209B
	v_cndmask_b32_e64 v78, v31, v78, s[72:73]                  // 000000004BDC: D100004E 01229D1F
	v_cndmask_b32_e64 v79, v31, v79, s[74:75]                  // 000000004BE4: D100004F 012A9F1F

0000000000004bec <label_063B>:
	s_nop 0                                                    // 000000004BEC: BF800000
	s_waitcnt lgkmcnt(0)                                       // 000000004BF0: BF8CC07F
	s_barrier                                                  // 000000004BF4: BF8A0000
	v_mfma_f32_32x32x8_bf16 v[96:111], v[192:193], v[80:81], v[96:111]// 000000004BF8: D3E00060 0582A1C0
	v_max3_f32 v25, v64, v65, v28                              // 000000004C00: D1D30019 04728340
	v_max3_f32 v25, v66, v67, v25                              // 000000004C08: D1D30019 04668742
	v_max3_f32 v25, v68, v69, v25                              // 000000004C10: D1D30019 04668B44
	v_max3_f32 v25, v70, v71, v25                              // 000000004C18: D1D30019 04668F46
	v_max3_f32 v25, v72, v73, v25                              // 000000004C20: D1D30019 04669348
	v_max3_f32 v25, v74, v75, v25                              // 000000004C28: D1D30019 0466974A
	v_max3_f32 v25, v76, v77, v25                              // 000000004C30: D1D30019 04669B4C
	v_mfma_f32_32x32x8_bf16 v[96:111], v[194:195], v[82:83], v[96:111]// 000000004C38: D3E00060 0582A5C2
	v_max3_f32 v25, v78, v79, v25                              // 000000004C40: D1D30019 04669F4E
	ds_permute_b32 v24, v32, v25                               // 000000004C48: D87C0000 18001920
	v_mfma_f32_32x32x8_bf16 v[96:111], v[196:197], v[84:85], v[96:111]// 000000004C50: D3E00060 0582A9C4
	v_nop                                                      // 000000004C58: 7E000000
	s_nop 0                                                    // 000000004C5C: BF800000
	v_mfma_f32_32x32x8_bf16 v[96:111], v[198:199], v[86:87], v[96:111]// 000000004C60: D3E00060 0582ADC6
	v_nop                                                      // 000000004C68: 7E000000
	v_mfma_f32_32x32x8_bf16 v[112:127], v[200:201], v[80:81], v[112:127]// 000000004C6C: D3E00070 05C2A1C8
	s_waitcnt lgkmcnt(0)                                       // 000000004C74: BF8CC07F
	v_max_f32_e32 v25, v24, v25                                // 000000004C78: 16323318
	v_sub_f32_e32 v20, v28, v25                                // 000000004C7C: 0428331C
	v_mov_b32_e32 v28, v25                                     // 000000004C80: 7E380319
	v_mul_f32_e32 v27, s56, v25                                // 000000004C84: 0A363238
	v_mul_f32_e32 v20, s56, v20                                // 000000004C88: 0A282838
	v_mfma_f32_32x32x8_bf16 v[112:127], v[202:203], v[82:83], v[112:127]// 000000004C8C: D3E00070 05C2A5CA
	v_exp_f32_e32 v20, v20                                     // 000000004C94: 7E284114
	v_fma_f32 v64, v64, s56, -v27                              // 000000004C98: D1CB0040 846C7140
	v_fma_f32 v65, v65, s56, -v27                              // 000000004CA0: D1CB0041 846C7141
	v_fma_f32 v66, v66, s56, -v27                              // 000000004CA8: D1CB0042 846C7142
	v_mfma_f32_32x32x8_bf16 v[112:127], v[204:205], v[84:85], v[112:127]// 000000004CB0: D3E00070 05C2A9CC
	v_fma_f32 v67, v67, s56, -v27                              // 000000004CB8: D1CB0043 846C7143
	v_fma_f32 v68, v68, s56, -v27                              // 000000004CC0: D1CB0044 846C7144
	v_fma_f32 v69, v69, s56, -v27                              // 000000004CC8: D1CB0045 846C7145
	v_fma_f32 v70, v70, s56, -v27                              // 000000004CD0: D1CB0046 846C7146
	v_fma_f32 v71, v71, s56, -v27                              // 000000004CD8: D1CB0047 846C7147
	v_fma_f32 v72, v72, s56, -v27                              // 000000004CE0: D1CB0048 846C7148
	v_fma_f32 v73, v73, s56, -v27                              // 000000004CE8: D1CB0049 846C7149
	v_mfma_f32_32x32x8_bf16 v[112:127], v[206:207], v[86:87], v[112:127]// 000000004CF0: D3E00070 05C2ADCE
	v_fma_f32 v74, v74, s56, -v27                              // 000000004CF8: D1CB004A 846C714A
	v_fma_f32 v75, v75, s56, -v27                              // 000000004D00: D1CB004B 846C714B
	v_fma_f32 v76, v76, s56, -v27                              // 000000004D08: D1CB004C 846C714C
	v_fma_f32 v77, v77, s56, -v27                              // 000000004D10: D1CB004D 846C714D
	v_fma_f32 v78, v78, s56, -v27                              // 000000004D18: D1CB004E 846C714E
	v_fma_f32 v79, v79, s56, -v27                              // 000000004D20: D1CB004F 846C714F
	v_exp_f32_e32 v64, v64                                     // 000000004D28: 7E804140
	v_mfma_f32_32x32x8_bf16 v[128:143], v[208:209], v[80:81], v[128:143]// 000000004D2C: D3E00080 0602A1D0
	v_exp_f32_e32 v65, v65                                     // 000000004D34: 7E824141
	v_exp_f32_e32 v66, v66                                     // 000000004D38: 7E844142
	v_mfma_f32_32x32x8_bf16 v[128:143], v[210:211], v[82:83], v[128:143]// 000000004D3C: D3E00080 0602A5D2
	v_exp_f32_e32 v67, v67                                     // 000000004D44: 7E864143
	v_exp_f32_e32 v68, v68                                     // 000000004D48: 7E884144
	v_mfma_f32_32x32x8_bf16 v[128:143], v[212:213], v[84:85], v[128:143]// 000000004D4C: D3E00080 0602A9D4
	v_exp_f32_e32 v69, v69                                     // 000000004D54: 7E8A4145
	v_exp_f32_e32 v70, v70                                     // 000000004D58: 7E8C4146
	v_mfma_f32_32x32x8_bf16 v[128:143], v[214:215], v[86:87], v[128:143]// 000000004D5C: D3E00080 0602ADD6
	v_exp_f32_e32 v71, v71                                     // 000000004D64: 7E8E4147
	v_exp_f32_e32 v72, v72                                     // 000000004D68: 7E904148
	v_mfma_f32_32x32x8_bf16 v[144:159], v[216:217], v[80:81], v[144:159]// 000000004D6C: D3E00090 0642A1D8
	v_exp_f32_e32 v73, v73                                     // 000000004D74: 7E924149
	v_exp_f32_e32 v74, v74                                     // 000000004D78: 7E94414A
	v_mfma_f32_32x32x8_bf16 v[144:159], v[218:219], v[82:83], v[144:159]// 000000004D7C: D3E00090 0642A5DA
	v_exp_f32_e32 v75, v75                                     // 000000004D84: 7E96414B
	v_exp_f32_e32 v76, v76                                     // 000000004D88: 7E98414C
	v_mfma_f32_32x32x8_bf16 v[144:159], v[220:221], v[84:85], v[144:159]// 000000004D8C: D3E00090 0642A9DC
	v_exp_f32_e32 v77, v77                                     // 000000004D94: 7E9A414D
	v_exp_f32_e32 v78, v78                                     // 000000004D98: 7E9C414E
	v_mfma_f32_32x32x8_bf16 v[144:159], v[222:223], v[86:87], v[144:159]// 000000004D9C: D3E00090 0642ADDE
	s_nop 0                                                    // 000000004DA4: BF800000
	s_waitcnt vmcnt(8)                                         // 000000004DA8: BF8C0F78
	s_barrier                                                  // 000000004DAC: BF8A0000
	s_nop 11                                                   // 000000004DB0: BF80000B
	s_nop 11                                                   // 000000004DB4: BF80000B
	ds_read_b128 v[192:195], v12 offset:8704                   // 000000004DB8: D9FE2200 C000000C
	ds_read_b128 v[196:199], v12 offset:8736                   // 000000004DC0: D9FE2220 C400000C
	ds_read_b128 v[200:203], v12 offset:8768                   // 000000004DC8: D9FE2240 C800000C
	ds_read_b128 v[204:207], v12 offset:8800                   // 000000004DD0: D9FE2260 CC00000C
	s_nop 15                                                   // 000000004DD8: BF80000F
	s_nop 15                                                   // 000000004DDC: BF80000F
	s_nop 10                                                   // 000000004DE0: BF80000A
	buffer_load_dword v228, v8, s[16:19], s35 offen            // 000000004DE4: E0501000 2304E408
	ds_read_b128 v[208:211], v12 offset:8832                   // 000000004DEC: D9FE2280 D000000C
	ds_read_b128 v[212:215], v12 offset:8864                   // 000000004DF4: D9FE22A0 D400000C
	buffer_load_dword v229, v9, s[16:19], s35 offen            // 000000004DFC: E0501000 2304E509
	ds_read_b128 v[216:219], v12 offset:8896                   // 000000004E04: D9FE22C0 D800000C
	ds_read_b128 v[220:223], v12 offset:8928                   // 000000004E0C: D9FE22E0 DC00000C
	buffer_load_dword v230, v10, s[16:19], s35 offen           // 000000004E14: E0501000 2304E60A
	buffer_load_dword v231, v11, s[16:19], s35 offen           // 000000004E1C: E0501000 2304E70B
	s_add_i32 s35, s44, s35                                    // 000000004E24: 8123232C
	s_add_u32 s40, 0x60, s39                                   // 000000004E28: 802827FF 00000060
	s_nop 0                                                    // 000000004E30: BF800000
	s_cmp_lt_u32 s40, s38                                      // 000000004E34: BF0A2628
	s_cselect_b32 s44, s44, 0                                  // 000000004E38: 852C802C
	s_add_i32 s52, s52, s53                                    // 000000004E3C: 81343534
	s_addk_i32 s39, 0x20                                       // 000000004E40: B7270020
	s_cmp_lt_i32 s39, s38                                      // 000000004E44: BF042627
	s_nop 0                                                    // 000000004E48: BF800000
	s_cbranch_scc0 label_0A20                                  // 000000004E4C: BF84034C
	s_branch label_0383                                        // 000000004E50: BF82FCAE

0000000000004e54 <label_06D5>:
	s_setprio 1                                                // 000000004E54: BF8F0001
	s_barrier                                                  // 000000004E58: BF8A0000

0000000000004e5c <label_06D7>:
	buffer_load_dword v228, v8, s[16:19], s35 offen            // 000000004E5C: E0501000 2304E408
	ds_read_b128 v[192:195], v12 offset:8704                   // 000000004E64: D9FE2200 C000000C
	ds_read_b128 v[196:199], v12 offset:8736                   // 000000004E6C: D9FE2220 C400000C
	buffer_load_dword v229, v9, s[16:19], s35 offen            // 000000004E74: E0501000 2304E509
	ds_read_b128 v[200:203], v12 offset:8768                   // 000000004E7C: D9FE2240 C800000C
	ds_read_b128 v[204:207], v12 offset:8800                   // 000000004E84: D9FE2260 CC00000C
	buffer_load_dword v230, v10, s[16:19], s35 offen           // 000000004E8C: E0501000 2304E60A
	ds_read_b128 v[208:211], v12 offset:8832                   // 000000004E94: D9FE2280 D000000C
	ds_read_b128 v[212:215], v12 offset:8864                   // 000000004E9C: D9FE22A0 D400000C
	buffer_load_dword v231, v11, s[16:19], s35 offen           // 000000004EA4: E0501000 2304E70B
	ds_read_b128 v[216:219], v12 offset:8896                   // 000000004EAC: D9FE22C0 D800000C
	ds_read_b128 v[220:223], v12 offset:8928                   // 000000004EB4: D9FE22E0 DC00000C
	s_add_i32 s35, s44, s35                                    // 000000004EBC: 8123232C
	s_add_u32 s40, 64, s39                                     // 000000004EC0: 802827C0
	s_nop 0                                                    // 000000004EC4: BF800000
	s_cmp_lt_u32 s40, s38                                      // 000000004EC8: BF0A2628
	s_cselect_b32 s44, s44, 0                                  // 000000004ECC: 852C802C
	s_waitcnt vmcnt(8) lgkmcnt(0)                              // 000000004ED0: BF8C0078
	s_barrier                                                  // 000000004ED4: BF8A0000
	v_perm_b32 v232, v225, v224, s50                           // 000000004ED8: D1ED00E8 00CBC1E1
	v_perm_b32 v234, v225, v224, s49                           // 000000004EE0: D1ED00EA 00C7C1E1
	v_perm_b32 v233, v227, v226, s50                           // 000000004EE8: D1ED00E9 00CBC5E3
	v_perm_b32 v235, v227, v226, s49                           // 000000004EF0: D1ED00EB 00C7C5E3
	ds_write_b64 v14, v[232:233] offset:17408                  // 000000004EF8: D89A4400 0000E80E
	ds_write_b64 v14, v[234:235] offset:21568                  // 000000004F00: D89A5440 0000EA0E
	s_nop 0                                                    // 000000004F08: BF800000
	s_barrier                                                  // 000000004F0C: BF8A0000
	v_mfma_f32_32x32x8_bf16 v[80:95], v[192:193], v[160:161], 0// 000000004F10: D3E00050 020341C0
	v_exp_f32_e32 v79, v79                                     // 000000004F18: 7E9E414F
	v_mul_f32_e32 v22, v20, v22                                // 000000004F1C: 0A2C2D14
	v_add_f32_e32 v38, v65, v64                                // 000000004F20: 024C8141
	v_add_f32_e32 v38, v66, v38                                // 000000004F24: 024C4D42
	v_mfma_f32_32x32x8_bf16 v[80:95], v[194:195], v[162:163], v[80:95]// 000000004F28: D3E00050 054345C2
	v_add_f32_e32 v38, v67, v38                                // 000000004F30: 024C4D43
	v_add_f32_e32 v38, v68, v38                                // 000000004F34: 024C4D44
	v_add_f32_e32 v38, v69, v38                                // 000000004F38: 024C4D45
	v_add_f32_e32 v38, v70, v38                                // 000000004F3C: 024C4D46
	v_add_f32_e32 v38, v71, v38                                // 000000004F40: 024C4D47
	v_add_f32_e32 v38, v72, v38                                // 000000004F44: 024C4D48
	v_add_f32_e32 v38, v73, v38                                // 000000004F48: 024C4D49
	v_mfma_f32_32x32x8_bf16 v[80:95], v[196:197], v[164:165], v[80:95]// 000000004F4C: D3E00050 054349C4
	v_add_f32_e32 v38, v74, v38                                // 000000004F54: 024C4D4A
	v_add_f32_e32 v38, v75, v38                                // 000000004F58: 024C4D4B
	v_add_f32_e32 v38, v76, v38                                // 000000004F5C: 024C4D4C
	v_add_f32_e32 v38, v77, v38                                // 000000004F60: 024C4D4D
	v_add_f32_e32 v38, v78, v38                                // 000000004F64: 024C4D4E
	v_add_f32_e32 v38, v79, v38                                // 000000004F68: 024C4D4F
	v_add_f32_e32 v22, v38, v22                                // 000000004F6C: 022C2D26
	v_mfma_f32_32x32x8_bf16 v[80:95], v[198:199], v[166:167], v[80:95]// 000000004F70: D3E00050 05434DC6
	s_waitcnt lgkmcnt(0)                                       // 000000004F78: BF8CC07F
	s_barrier                                                  // 000000004F7C: BF8A0000
	v_mfma_f32_32x32x8_bf16 v[80:95], v[200:201], v[168:169], v[80:95]// 000000004F80: D3E00050 054351C8
	v_mul_f32_e32 v96, v20, v96                                // 000000004F88: 0AC0C114
	v_mul_f32_e32 v97, v20, v97                                // 000000004F8C: 0AC2C314
	v_mul_f32_e32 v98, v20, v98                                // 000000004F90: 0AC4C514
	v_mul_f32_e32 v99, v20, v99                                // 000000004F94: 0AC6C714
	v_mul_f32_e32 v100, v20, v100                              // 000000004F98: 0AC8C914
	v_mul_f32_e32 v101, v20, v101                              // 000000004F9C: 0ACACB14
	v_mul_f32_e32 v102, v20, v102                              // 000000004FA0: 0ACCCD14
	v_mfma_f32_32x32x8_bf16 v[80:95], v[202:203], v[170:171], v[80:95]// 000000004FA4: D3E00050 054355CA
	v_mul_f32_e32 v103, v20, v103                              // 000000004FAC: 0ACECF14
	v_mul_f32_e32 v104, v20, v104                              // 000000004FB0: 0AD0D114
	v_mul_f32_e32 v105, v20, v105                              // 000000004FB4: 0AD2D314
	v_mul_f32_e32 v106, v20, v106                              // 000000004FB8: 0AD4D514
	v_mul_f32_e32 v107, v20, v107                              // 000000004FBC: 0AD6D714
	v_mul_f32_e32 v108, v20, v108                              // 000000004FC0: 0AD8D914
	v_mul_f32_e32 v109, v20, v109                              // 000000004FC4: 0ADADB14
	v_mfma_f32_32x32x8_bf16 v[80:95], v[204:205], v[172:173], v[80:95]// 000000004FC8: D3E00050 054359CC
	v_mul_f32_e32 v110, v20, v110                              // 000000004FD0: 0ADCDD14
	v_mul_f32_e32 v111, v20, v111                              // 000000004FD4: 0ADEDF14
	v_mul_f32_e32 v112, v20, v112                              // 000000004FD8: 0AE0E114
	v_mul_f32_e32 v113, v20, v113                              // 000000004FDC: 0AE2E314
	v_mul_f32_e32 v114, v20, v114                              // 000000004FE0: 0AE4E514
	v_mul_f32_e32 v115, v20, v115                              // 000000004FE4: 0AE6E714
	v_mul_f32_e32 v116, v20, v116                              // 000000004FE8: 0AE8E914
	v_mfma_f32_32x32x8_bf16 v[80:95], v[206:207], v[174:175], v[80:95]// 000000004FEC: D3E00050 05435DCE
	v_mul_f32_e32 v117, v20, v117                              // 000000004FF4: 0AEAEB14
	v_mul_f32_e32 v118, v20, v118                              // 000000004FF8: 0AECED14
	v_mul_f32_e32 v119, v20, v119                              // 000000004FFC: 0AEEEF14
	v_mul_f32_e32 v120, v20, v120                              // 000000005000: 0AF0F114
	v_mul_f32_e32 v121, v20, v121                              // 000000005004: 0AF2F314
	v_mul_f32_e32 v122, v20, v122                              // 000000005008: 0AF4F514
	v_mul_f32_e32 v123, v20, v123                              // 00000000500C: 0AF6F714
	v_mfma_f32_32x32x8_bf16 v[80:95], v[208:209], v[176:177], v[80:95]// 000000005010: D3E00050 054361D0
	v_mul_f32_e32 v124, v20, v124                              // 000000005018: 0AF8F914
	v_mul_f32_e32 v125, v20, v125                              // 00000000501C: 0AFAFB14
	v_mul_f32_e32 v126, v20, v126                              // 000000005020: 0AFCFD14
	v_mul_f32_e32 v127, v20, v127                              // 000000005024: 0AFEFF14
	v_mul_f32_e32 v128, v20, v128                              // 000000005028: 0B010114
	v_mul_f32_e32 v129, v20, v129                              // 00000000502C: 0B030314
	v_mul_f32_e32 v130, v20, v130                              // 000000005030: 0B050514
	v_mfma_f32_32x32x8_bf16 v[80:95], v[210:211], v[178:179], v[80:95]// 000000005034: D3E00050 054365D2
	v_mul_f32_e32 v131, v20, v131                              // 00000000503C: 0B070714
	v_mul_f32_e32 v132, v20, v132                              // 000000005040: 0B090914
	v_mul_f32_e32 v133, v20, v133                              // 000000005044: 0B0B0B14
	v_mul_f32_e32 v134, v20, v134                              // 000000005048: 0B0D0D14
	v_mul_f32_e32 v135, v20, v135                              // 00000000504C: 0B0F0F14
	v_mul_f32_e32 v136, v20, v136                              // 000000005050: 0B111114
	v_mul_f32_e32 v137, v20, v137                              // 000000005054: 0B131314
	v_mfma_f32_32x32x8_bf16 v[80:95], v[212:213], v[180:181], v[80:95]// 000000005058: D3E00050 054369D4
	v_mul_f32_e32 v138, v20, v138                              // 000000005060: 0B151514
	v_mul_f32_e32 v139, v20, v139                              // 000000005064: 0B171714
	v_mul_f32_e32 v140, v20, v140                              // 000000005068: 0B191914
	v_mul_f32_e32 v141, v20, v141                              // 00000000506C: 0B1B1B14
	v_mul_f32_e32 v142, v20, v142                              // 000000005070: 0B1D1D14
	v_mul_f32_e32 v143, v20, v143                              // 000000005074: 0B1F1F14
	v_mul_f32_e32 v144, v20, v144                              // 000000005078: 0B212114
	v_mfma_f32_32x32x8_bf16 v[80:95], v[214:215], v[182:183], v[80:95]// 00000000507C: D3E00050 05436DD6
	v_mul_f32_e32 v145, v20, v145                              // 000000005084: 0B232314
	v_mul_f32_e32 v146, v20, v146                              // 000000005088: 0B252514
	v_mul_f32_e32 v147, v20, v147                              // 00000000508C: 0B272714
	v_mul_f32_e32 v148, v20, v148                              // 000000005090: 0B292914
	v_mul_f32_e32 v149, v20, v149                              // 000000005094: 0B2B2B14
	v_mul_f32_e32 v150, v20, v150                              // 000000005098: 0B2D2D14
	v_mul_f32_e32 v151, v20, v151                              // 00000000509C: 0B2F2F14
	v_mfma_f32_32x32x8_bf16 v[80:95], v[216:217], v[184:185], v[80:95]// 0000000050A0: D3E00050 054371D8
	v_mul_f32_e32 v152, v20, v152                              // 0000000050A8: 0B313114
	v_mul_f32_e32 v153, v20, v153                              // 0000000050AC: 0B333314
	v_mul_f32_e32 v154, v20, v154                              // 0000000050B0: 0B353514
	v_mul_f32_e32 v155, v20, v155                              // 0000000050B4: 0B373714
	v_mul_f32_e32 v156, v20, v156                              // 0000000050B8: 0B393914
	v_mul_f32_e32 v157, v20, v157                              // 0000000050BC: 0B3B3B14
	v_mul_f32_e32 v158, v20, v158                              // 0000000050C0: 0B3D3D14
	v_mfma_f32_32x32x8_bf16 v[80:95], v[218:219], v[186:187], v[80:95]// 0000000050C4: D3E00050 054375DA
	v_mul_f32_e32 v159, v20, v159                              // 0000000050CC: 0B3F3F14
	v_perm_b32 v64, v65, v64, s49                              // 0000000050D0: D1ED0040 00C68141
	v_perm_b32 v65, v67, v66, s49                              // 0000000050D8: D1ED0041 00C68543
	v_perm_b32 v66, v69, v68, s49                              // 0000000050E0: D1ED0042 00C68945
	v_perm_b32 v67, v71, v70, s49                              // 0000000050E8: D1ED0043 00C68D47
	v_perm_b32 v68, v73, v72, s49                              // 0000000050F0: D1ED0044 00C69149
	v_perm_b32 v69, v75, v74, s49                              // 0000000050F8: D1ED0045 00C6954B
	v_mfma_f32_32x32x8_bf16 v[80:95], v[220:221], v[188:189], v[80:95]// 000000005100: D3E00050 054379DC
	v_perm_b32 v70, v77, v76, s49                              // 000000005108: D1ED0046 00C6994D
	v_perm_b32 v71, v79, v78, s49                              // 000000005110: D1ED0047 00C69D4F
	v_mfma_f32_32x32x8_bf16 v[80:95], v[222:223], v[190:191], v[80:95]// 000000005118: D3E00050 05437DDE
	s_barrier                                                  // 000000005120: BF8A0000
	s_cmp_lt_i32 s52, s54                                      // 000000005124: BF043634
	s_cbranch_scc1 label_07CE                                  // 000000005128: BF850043
	s_sub_i32 s40, s7, s52                                     // 00000000512C: 81A83407
	v_sub_i32 v16, s40, v30                                    // 000000005130: D29D0010 00023C28
	v_cmp_lt_i32_e64 s[72:73], 0, v16                          // 000000005138: D0C10048 00022080
	v_cmp_lt_i32_e64 s[74:75], 1, v16                          // 000000005140: D0C1004A 00022081
	v_cndmask_b32_e64 v80, v31, v80, s[72:73]                  // 000000005148: D1000050 0122A11F
	v_cndmask_b32_e64 v81, v31, v81, s[74:75]                  // 000000005150: D1000051 012AA31F
	v_cmp_lt_i32_e64 s[72:73], 2, v16                          // 000000005158: D0C10048 00022082
	v_cmp_lt_i32_e64 s[74:75], 3, v16                          // 000000005160: D0C1004A 00022083
	v_cndmask_b32_e64 v82, v31, v82, s[72:73]                  // 000000005168: D1000052 0122A51F
	v_cndmask_b32_e64 v83, v31, v83, s[74:75]                  // 000000005170: D1000053 012AA71F
	v_cmp_lt_i32_e64 s[72:73], 8, v16                          // 000000005178: D0C10048 00022088
	v_cmp_lt_i32_e64 s[74:75], 9, v16                          // 000000005180: D0C1004A 00022089
	v_cndmask_b32_e64 v84, v31, v84, s[72:73]                  // 000000005188: D1000054 0122A91F
	v_cndmask_b32_e64 v85, v31, v85, s[74:75]                  // 000000005190: D1000055 012AAB1F
	v_cmp_lt_i32_e64 s[72:73], 10, v16                         // 000000005198: D0C10048 0002208A
	v_cmp_lt_i32_e64 s[74:75], 11, v16                         // 0000000051A0: D0C1004A 0002208B
	v_cndmask_b32_e64 v86, v31, v86, s[72:73]                  // 0000000051A8: D1000056 0122AD1F
	v_cndmask_b32_e64 v87, v31, v87, s[74:75]                  // 0000000051B0: D1000057 012AAF1F
	v_cmp_lt_i32_e64 s[72:73], 16, v16                         // 0000000051B8: D0C10048 00022090
	v_cmp_lt_i32_e64 s[74:75], 17, v16                         // 0000000051C0: D0C1004A 00022091
	v_cndmask_b32_e64 v88, v31, v88, s[72:73]                  // 0000000051C8: D1000058 0122B11F
	v_cndmask_b32_e64 v89, v31, v89, s[74:75]                  // 0000000051D0: D1000059 012AB31F
	v_cmp_lt_i32_e64 s[72:73], 18, v16                         // 0000000051D8: D0C10048 00022092
	v_cmp_lt_i32_e64 s[74:75], 19, v16                         // 0000000051E0: D0C1004A 00022093
	v_cndmask_b32_e64 v90, v31, v90, s[72:73]                  // 0000000051E8: D100005A 0122B51F
	v_cndmask_b32_e64 v91, v31, v91, s[74:75]                  // 0000000051F0: D100005B 012AB71F
	v_cmp_lt_i32_e64 s[72:73], 24, v16                         // 0000000051F8: D0C10048 00022098
	v_cmp_lt_i32_e64 s[74:75], 25, v16                         // 000000005200: D0C1004A 00022099
	v_cndmask_b32_e64 v92, v31, v92, s[72:73]                  // 000000005208: D100005C 0122B91F
	v_cndmask_b32_e64 v93, v31, v93, s[74:75]                  // 000000005210: D100005D 012ABB1F
	v_cmp_lt_i32_e64 s[72:73], 26, v16                         // 000000005218: D0C10048 0002209A
	v_cmp_lt_i32_e64 s[74:75], 27, v16                         // 000000005220: D0C1004A 0002209B
	v_cndmask_b32_e64 v94, v31, v94, s[72:73]                  // 000000005228: D100005E 0122BD1F
	v_cndmask_b32_e64 v95, v31, v95, s[74:75]                  // 000000005230: D100005F 012ABF1F

0000000000005238 <label_07CE>:
	s_nop 0                                                    // 000000005238: BF800000
	s_nop 0                                                    // 00000000523C: BF800000
	s_nop 14                                                   // 000000005240: BF80000E
	s_mov_b32 m0, s69                                          // 000000005244: BEFC0045
	ds_read_b64 v[192:193], v13 offset:17408                   // 000000005248: D8EC4400 C000000D
	ds_read_b64 v[194:195], v13 offset:18432                   // 000000005250: D8EC4800 C200000D
	ds_read_b64 v[196:197], v13 offset:19456                   // 000000005258: D8EC4C00 C400000D
	ds_read_b64 v[198:199], v13 offset:20480                   // 000000005260: D8EC5000 C600000D
	ds_read_b64 v[200:201], v13 offset:17536                   // 000000005268: D8EC4480 C800000D
	ds_read_b64 v[202:203], v13 offset:18560                   // 000000005270: D8EC4880 CA00000D
	ds_read_b64 v[204:205], v13 offset:19584                   // 000000005278: D8EC4C80 CC00000D
	ds_read_b64 v[206:207], v13 offset:20608                   // 000000005280: D8EC5080 CE00000D
	s_nop 15                                                   // 000000005288: BF80000F
	s_nop 15                                                   // 00000000528C: BF80000F
	buffer_load_dword v4, s[12:15], s60 offen lds              // 000000005290: E0511000 3C030004
	s_add_u32 m0, 0x880, m0                                    // 000000005298: 807C7CFF 00000880
	ds_read_b64 v[208:209], v13 offset:17664                   // 0000000052A0: D8EC4500 D000000D
	ds_read_b64 v[210:211], v13 offset:18688                   // 0000000052A8: D8EC4900 D200000D
	ds_read_b64 v[212:213], v13 offset:19712                   // 0000000052B0: D8EC4D00 D400000D
	ds_read_b64 v[214:215], v13 offset:20736                   // 0000000052B8: D8EC5100 D600000D
	buffer_load_dword v5, s[12:15], s60 offen lds              // 0000000052C0: E0511000 3C030005
	s_add_u32 m0, 0x880, m0                                    // 0000000052C8: 807C7CFF 00000880
	ds_read_b64 v[216:217], v13 offset:17792                   // 0000000052D0: D8EC4580 D800000D
	ds_read_b64 v[218:219], v13 offset:18816                   // 0000000052D8: D8EC4980 DA00000D
	ds_read_b64 v[220:221], v13 offset:19840                   // 0000000052E0: D8EC4D80 DC00000D
	ds_read_b64 v[222:223], v13 offset:20864                   // 0000000052E8: D8EC5180 DE00000D
	buffer_load_dword v6, s[12:15], s60 offen lds              // 0000000052F0: E0511000 3C030006
	s_add_u32 m0, 0x880, m0                                    // 0000000052F8: 807C7CFF 00000880
	buffer_load_dword v7, s[12:15], s60 offen lds              // 000000005300: E0511000 3C030007
	s_add_u32 m0, 0x880, m0                                    // 000000005308: 807C7CFF 00000880
	s_add_i32 s60, s43, s60                                    // 000000005310: 813C3C2B
	s_add_u32 s40, 0x80, s39                                   // 000000005314: 802827FF 00000080
	s_cmp_lt_u32 s40, s38                                      // 00000000531C: BF0A2628
	s_cselect_b32 s43, s43, 0                                  // 000000005320: 852B802B
	s_add_i32 s52, s52, s53                                    // 000000005324: 81343534
	s_addk_i32 s39, 0x20                                       // 000000005328: B7270020
	s_cmp_lt_i32 s39, s38                                      // 00000000532C: BF042627
	s_waitcnt vmcnt(8) lgkmcnt(0)                              // 000000005330: BF8C0078
	s_barrier                                                  // 000000005334: BF8A0000
	v_mfma_f32_32x32x8_bf16 v[96:111], v[192:193], v[64:65], v[96:111]// 000000005338: D3E00060 058281C0
	v_max3_f32 v25, v80, v81, v28                              // 000000005340: D1D30019 0472A350
	v_max3_f32 v25, v82, v83, v25                              // 000000005348: D1D30019 0466A752
	v_max3_f32 v25, v84, v85, v25                              // 000000005350: D1D30019 0466AB54
	v_max3_f32 v25, v86, v87, v25                              // 000000005358: D1D30019 0466AF56
	v_max3_f32 v25, v88, v89, v25                              // 000000005360: D1D30019 0466B358
	v_max3_f32 v25, v90, v91, v25                              // 000000005368: D1D30019 0466B75A
	v_max3_f32 v25, v92, v93, v25                              // 000000005370: D1D30019 0466BB5C
	v_mfma_f32_32x32x8_bf16 v[96:111], v[194:195], v[66:67], v[96:111]// 000000005378: D3E00060 058285C2
	v_max3_f32 v25, v94, v95, v25                              // 000000005380: D1D30019 0466BF5E
	ds_permute_b32 v24, v32, v25                               // 000000005388: D87C0000 18001920
	v_mfma_f32_32x32x8_bf16 v[96:111], v[196:197], v[68:69], v[96:111]// 000000005390: D3E00060 058289C4
	v_nop                                                      // 000000005398: 7E000000
	s_nop 0                                                    // 00000000539C: BF800000
	v_mfma_f32_32x32x8_bf16 v[96:111], v[198:199], v[70:71], v[96:111]// 0000000053A0: D3E00060 05828DC6
	v_nop                                                      // 0000000053A8: 7E000000
	v_mfma_f32_32x32x8_bf16 v[112:127], v[200:201], v[64:65], v[112:127]// 0000000053AC: D3E00070 05C281C8
	s_waitcnt lgkmcnt(0)                                       // 0000000053B4: BF8CC07F
	v_max_f32_e32 v25, v24, v25                                // 0000000053B8: 16323318
	v_sub_f32_e32 v20, v28, v25                                // 0000000053BC: 0428331C
	v_mov_b32_e32 v28, v25                                     // 0000000053C0: 7E380319
	v_mul_f32_e32 v27, s56, v25                                // 0000000053C4: 0A363238
	v_mul_f32_e32 v20, s56, v20                                // 0000000053C8: 0A282838
	v_mfma_f32_32x32x8_bf16 v[112:127], v[202:203], v[66:67], v[112:127]// 0000000053CC: D3E00070 05C285CA
	v_exp_f32_e32 v20, v20                                     // 0000000053D4: 7E284114
	v_fma_f32 v80, v80, s56, -v27                              // 0000000053D8: D1CB0050 846C7150
	v_fma_f32 v81, v81, s56, -v27                              // 0000000053E0: D1CB0051 846C7151
	v_fma_f32 v82, v82, s56, -v27                              // 0000000053E8: D1CB0052 846C7152
	v_mfma_f32_32x32x8_bf16 v[112:127], v[204:205], v[68:69], v[112:127]// 0000000053F0: D3E00070 05C289CC
	v_fma_f32 v83, v83, s56, -v27                              // 0000000053F8: D1CB0053 846C7153
	v_fma_f32 v84, v84, s56, -v27                              // 000000005400: D1CB0054 846C7154
	v_fma_f32 v85, v85, s56, -v27                              // 000000005408: D1CB0055 846C7155
	v_fma_f32 v86, v86, s56, -v27                              // 000000005410: D1CB0056 846C7156
	v_fma_f32 v87, v87, s56, -v27                              // 000000005418: D1CB0057 846C7157
	v_fma_f32 v88, v88, s56, -v27                              // 000000005420: D1CB0058 846C7158
	v_fma_f32 v89, v89, s56, -v27                              // 000000005428: D1CB0059 846C7159
	v_mfma_f32_32x32x8_bf16 v[112:127], v[206:207], v[70:71], v[112:127]// 000000005430: D3E00070 05C28DCE
	v_fma_f32 v90, v90, s56, -v27                              // 000000005438: D1CB005A 846C715A
	v_fma_f32 v91, v91, s56, -v27                              // 000000005440: D1CB005B 846C715B
	v_fma_f32 v92, v92, s56, -v27                              // 000000005448: D1CB005C 846C715C
	v_fma_f32 v93, v93, s56, -v27                              // 000000005450: D1CB005D 846C715D
	v_fma_f32 v94, v94, s56, -v27                              // 000000005458: D1CB005E 846C715E
	v_fma_f32 v95, v95, s56, -v27                              // 000000005460: D1CB005F 846C715F
	v_exp_f32_e32 v80, v80                                     // 000000005468: 7EA04150
	v_mfma_f32_32x32x8_bf16 v[128:143], v[208:209], v[64:65], v[128:143]// 00000000546C: D3E00080 060281D0
	v_exp_f32_e32 v81, v81                                     // 000000005474: 7EA24151
	v_exp_f32_e32 v82, v82                                     // 000000005478: 7EA44152
	v_mfma_f32_32x32x8_bf16 v[128:143], v[210:211], v[66:67], v[128:143]// 00000000547C: D3E00080 060285D2
	v_exp_f32_e32 v83, v83                                     // 000000005484: 7EA64153
	v_exp_f32_e32 v84, v84                                     // 000000005488: 7EA84154
	v_mfma_f32_32x32x8_bf16 v[128:143], v[212:213], v[68:69], v[128:143]// 00000000548C: D3E00080 060289D4
	v_exp_f32_e32 v85, v85                                     // 000000005494: 7EAA4155
	v_exp_f32_e32 v86, v86                                     // 000000005498: 7EAC4156
	v_mfma_f32_32x32x8_bf16 v[128:143], v[214:215], v[70:71], v[128:143]// 00000000549C: D3E00080 06028DD6
	v_exp_f32_e32 v87, v87                                     // 0000000054A4: 7EAE4157
	v_exp_f32_e32 v88, v88                                     // 0000000054A8: 7EB04158
	v_mfma_f32_32x32x8_bf16 v[144:159], v[216:217], v[64:65], v[144:159]// 0000000054AC: D3E00090 064281D8
	v_exp_f32_e32 v89, v89                                     // 0000000054B4: 7EB24159
	v_exp_f32_e32 v90, v90                                     // 0000000054B8: 7EB4415A
	v_mfma_f32_32x32x8_bf16 v[144:159], v[218:219], v[66:67], v[144:159]// 0000000054BC: D3E00090 064285DA
	v_exp_f32_e32 v91, v91                                     // 0000000054C4: 7EB6415B
	v_exp_f32_e32 v92, v92                                     // 0000000054C8: 7EB8415C
	v_mfma_f32_32x32x8_bf16 v[144:159], v[220:221], v[68:69], v[144:159]// 0000000054CC: D3E00090 064289DC
	v_exp_f32_e32 v93, v93                                     // 0000000054D4: 7EBA415D
	v_exp_f32_e32 v94, v94                                     // 0000000054D8: 7EBC415E
	v_mfma_f32_32x32x8_bf16 v[144:159], v[222:223], v[70:71], v[144:159]// 0000000054DC: D3E00090 06428DDE
	v_nop                                                      // 0000000054E4: 7E000000
	s_cbranch_scc0 label_0A20                                  // 0000000054E8: BF8401A5
	buffer_load_dword v224, v8, s[16:19], s35 offen            // 0000000054EC: E0501000 2304E008
	ds_read_b128 v[192:195], v12                               // 0000000054F4: D9FE0000 C000000C
	ds_read_b128 v[196:199], v12 offset:32                     // 0000000054FC: D9FE0020 C400000C
	buffer_load_dword v225, v9, s[16:19], s35 offen            // 000000005504: E0501000 2304E109
	ds_read_b128 v[200:203], v12 offset:64                     // 00000000550C: D9FE0040 C800000C
	ds_read_b128 v[204:207], v12 offset:96                     // 000000005514: D9FE0060 CC00000C
	buffer_load_dword v226, v10, s[16:19], s35 offen           // 00000000551C: E0501000 2304E20A
	ds_read_b128 v[208:211], v12 offset:128                    // 000000005524: D9FE0080 D000000C
	ds_read_b128 v[212:215], v12 offset:160                    // 00000000552C: D9FE00A0 D400000C
	buffer_load_dword v227, v11, s[16:19], s35 offen           // 000000005534: E0501000 2304E30B
	ds_read_b128 v[216:219], v12 offset:192                    // 00000000553C: D9FE00C0 D800000C
	ds_read_b128 v[220:223], v12 offset:224                    // 000000005544: D9FE00E0 DC00000C
	s_add_i32 s35, s44, s35                                    // 00000000554C: 8123232C
	s_add_u32 s40, 64, s39                                     // 000000005550: 802827C0
	s_nop 0                                                    // 000000005554: BF800000
	s_cmp_lt_u32 s40, s38                                      // 000000005558: BF0A2628
	s_cselect_b32 s44, s44, 0                                  // 00000000555C: 852C802C
	s_waitcnt vmcnt(8) lgkmcnt(0)                              // 000000005560: BF8C0078
	s_barrier                                                  // 000000005564: BF8A0000
	v_perm_b32 v232, v229, v228, s50                           // 000000005568: D1ED00E8 00CBC9E5
	v_perm_b32 v234, v229, v228, s49                           // 000000005570: D1ED00EA 00C7C9E5
	v_perm_b32 v233, v231, v230, s50                           // 000000005578: D1ED00E9 00CBCDE7
	v_perm_b32 v235, v231, v230, s49                           // 000000005580: D1ED00EB 00C7CDE7
	ds_write_b64 v14, v[232:233] offset:17408                  // 000000005588: D89A4400 0000E80E
	ds_write_b64 v14, v[234:235] offset:21568                  // 000000005590: D89A5440 0000EA0E
	s_nop 0                                                    // 000000005598: BF800000
	s_barrier                                                  // 00000000559C: BF8A0000
	v_mfma_f32_32x32x8_bf16 v[64:79], v[192:193], v[160:161], 0// 0000000055A0: D3E00040 020341C0
	v_exp_f32_e32 v95, v95                                     // 0000000055A8: 7EBE415F
	v_mul_f32_e32 v22, v20, v22                                // 0000000055AC: 0A2C2D14
	v_add_f32_e32 v38, v81, v80                                // 0000000055B0: 024CA151
	v_add_f32_e32 v38, v82, v38                                // 0000000055B4: 024C4D52
	v_mfma_f32_32x32x8_bf16 v[64:79], v[194:195], v[162:163], v[64:79]// 0000000055B8: D3E00040 050345C2
	v_add_f32_e32 v38, v83, v38                                // 0000000055C0: 024C4D53
	v_add_f32_e32 v38, v84, v38                                // 0000000055C4: 024C4D54
	v_add_f32_e32 v38, v85, v38                                // 0000000055C8: 024C4D55
	v_add_f32_e32 v38, v86, v38                                // 0000000055CC: 024C4D56
	v_add_f32_e32 v38, v87, v38                                // 0000000055D0: 024C4D57
	v_add_f32_e32 v38, v88, v38                                // 0000000055D4: 024C4D58
	v_add_f32_e32 v38, v89, v38                                // 0000000055D8: 024C4D59
	v_mfma_f32_32x32x8_bf16 v[64:79], v[196:197], v[164:165], v[64:79]// 0000000055DC: D3E00040 050349C4
	v_add_f32_e32 v38, v90, v38                                // 0000000055E4: 024C4D5A
	v_add_f32_e32 v38, v91, v38                                // 0000000055E8: 024C4D5B
	v_add_f32_e32 v38, v92, v38                                // 0000000055EC: 024C4D5C
	v_add_f32_e32 v38, v93, v38                                // 0000000055F0: 024C4D5D
	v_add_f32_e32 v38, v94, v38                                // 0000000055F4: 024C4D5E
	v_add_f32_e32 v38, v95, v38                                // 0000000055F8: 024C4D5F
	v_add_f32_e32 v22, v38, v22                                // 0000000055FC: 022C2D26
	v_mfma_f32_32x32x8_bf16 v[64:79], v[198:199], v[166:167], v[64:79]// 000000005600: D3E00040 05034DC6
	s_waitcnt lgkmcnt(0)                                       // 000000005608: BF8CC07F
	s_barrier                                                  // 00000000560C: BF8A0000
	v_mfma_f32_32x32x8_bf16 v[64:79], v[200:201], v[168:169], v[64:79]// 000000005610: D3E00040 050351C8
	v_mul_f32_e32 v96, v20, v96                                // 000000005618: 0AC0C114
	v_mul_f32_e32 v97, v20, v97                                // 00000000561C: 0AC2C314
	v_mul_f32_e32 v98, v20, v98                                // 000000005620: 0AC4C514
	v_mul_f32_e32 v99, v20, v99                                // 000000005624: 0AC6C714
	v_mul_f32_e32 v100, v20, v100                              // 000000005628: 0AC8C914
	v_mul_f32_e32 v101, v20, v101                              // 00000000562C: 0ACACB14
	v_mul_f32_e32 v102, v20, v102                              // 000000005630: 0ACCCD14
	v_mfma_f32_32x32x8_bf16 v[64:79], v[202:203], v[170:171], v[64:79]// 000000005634: D3E00040 050355CA
	v_mul_f32_e32 v103, v20, v103                              // 00000000563C: 0ACECF14
	v_mul_f32_e32 v104, v20, v104                              // 000000005640: 0AD0D114
	v_mul_f32_e32 v105, v20, v105                              // 000000005644: 0AD2D314
	v_mul_f32_e32 v106, v20, v106                              // 000000005648: 0AD4D514
	v_mul_f32_e32 v107, v20, v107                              // 00000000564C: 0AD6D714
	v_mul_f32_e32 v108, v20, v108                              // 000000005650: 0AD8D914
	v_mul_f32_e32 v109, v20, v109                              // 000000005654: 0ADADB14
	v_mfma_f32_32x32x8_bf16 v[64:79], v[204:205], v[172:173], v[64:79]// 000000005658: D3E00040 050359CC
	v_mul_f32_e32 v110, v20, v110                              // 000000005660: 0ADCDD14
	v_mul_f32_e32 v111, v20, v111                              // 000000005664: 0ADEDF14
	v_mul_f32_e32 v112, v20, v112                              // 000000005668: 0AE0E114
	v_mul_f32_e32 v113, v20, v113                              // 00000000566C: 0AE2E314
	v_mul_f32_e32 v114, v20, v114                              // 000000005670: 0AE4E514
	v_mul_f32_e32 v115, v20, v115                              // 000000005674: 0AE6E714
	v_mul_f32_e32 v116, v20, v116                              // 000000005678: 0AE8E914
	v_mfma_f32_32x32x8_bf16 v[64:79], v[206:207], v[174:175], v[64:79]// 00000000567C: D3E00040 05035DCE
	v_mul_f32_e32 v117, v20, v117                              // 000000005684: 0AEAEB14
	v_mul_f32_e32 v118, v20, v118                              // 000000005688: 0AECED14
	v_mul_f32_e32 v119, v20, v119                              // 00000000568C: 0AEEEF14
	v_mul_f32_e32 v120, v20, v120                              // 000000005690: 0AF0F114
	v_mul_f32_e32 v121, v20, v121                              // 000000005694: 0AF2F314
	v_mul_f32_e32 v122, v20, v122                              // 000000005698: 0AF4F514
	v_mul_f32_e32 v123, v20, v123                              // 00000000569C: 0AF6F714
	v_mfma_f32_32x32x8_bf16 v[64:79], v[208:209], v[176:177], v[64:79]// 0000000056A0: D3E00040 050361D0
	v_mul_f32_e32 v124, v20, v124                              // 0000000056A8: 0AF8F914
	v_mul_f32_e32 v125, v20, v125                              // 0000000056AC: 0AFAFB14
	v_mul_f32_e32 v126, v20, v126                              // 0000000056B0: 0AFCFD14
	v_mul_f32_e32 v127, v20, v127                              // 0000000056B4: 0AFEFF14
	v_mul_f32_e32 v128, v20, v128                              // 0000000056B8: 0B010114
	v_mul_f32_e32 v129, v20, v129                              // 0000000056BC: 0B030314
	v_mul_f32_e32 v130, v20, v130                              // 0000000056C0: 0B050514
	v_mfma_f32_32x32x8_bf16 v[64:79], v[210:211], v[178:179], v[64:79]// 0000000056C4: D3E00040 050365D2
	v_mul_f32_e32 v131, v20, v131                              // 0000000056CC: 0B070714
	v_mul_f32_e32 v132, v20, v132                              // 0000000056D0: 0B090914
	v_mul_f32_e32 v133, v20, v133                              // 0000000056D4: 0B0B0B14
	v_mul_f32_e32 v134, v20, v134                              // 0000000056D8: 0B0D0D14
	v_mul_f32_e32 v135, v20, v135                              // 0000000056DC: 0B0F0F14
	v_mul_f32_e32 v136, v20, v136                              // 0000000056E0: 0B111114
	v_mul_f32_e32 v137, v20, v137                              // 0000000056E4: 0B131314
	v_mfma_f32_32x32x8_bf16 v[64:79], v[212:213], v[180:181], v[64:79]// 0000000056E8: D3E00040 050369D4
	v_mul_f32_e32 v138, v20, v138                              // 0000000056F0: 0B151514
	v_mul_f32_e32 v139, v20, v139                              // 0000000056F4: 0B171714
	v_mul_f32_e32 v140, v20, v140                              // 0000000056F8: 0B191914
	v_mul_f32_e32 v141, v20, v141                              // 0000000056FC: 0B1B1B14
	v_mul_f32_e32 v142, v20, v142                              // 000000005700: 0B1D1D14
	v_mul_f32_e32 v143, v20, v143                              // 000000005704: 0B1F1F14
	v_mul_f32_e32 v144, v20, v144                              // 000000005708: 0B212114
	v_mfma_f32_32x32x8_bf16 v[64:79], v[214:215], v[182:183], v[64:79]// 00000000570C: D3E00040 05036DD6
	v_mul_f32_e32 v145, v20, v145                              // 000000005714: 0B232314
	v_mul_f32_e32 v146, v20, v146                              // 000000005718: 0B252514
	v_mul_f32_e32 v147, v20, v147                              // 00000000571C: 0B272714
	v_mul_f32_e32 v148, v20, v148                              // 000000005720: 0B292914
	v_mul_f32_e32 v149, v20, v149                              // 000000005724: 0B2B2B14
	v_mul_f32_e32 v150, v20, v150                              // 000000005728: 0B2D2D14
	v_mul_f32_e32 v151, v20, v151                              // 00000000572C: 0B2F2F14
	v_mfma_f32_32x32x8_bf16 v[64:79], v[216:217], v[184:185], v[64:79]// 000000005730: D3E00040 050371D8
	v_mul_f32_e32 v152, v20, v152                              // 000000005738: 0B313114
	v_mul_f32_e32 v153, v20, v153                              // 00000000573C: 0B333314
	v_mul_f32_e32 v154, v20, v154                              // 000000005740: 0B353514
	v_mul_f32_e32 v155, v20, v155                              // 000000005744: 0B373714
	v_mul_f32_e32 v156, v20, v156                              // 000000005748: 0B393914
	v_mul_f32_e32 v157, v20, v157                              // 00000000574C: 0B3B3B14
	v_mul_f32_e32 v158, v20, v158                              // 000000005750: 0B3D3D14
	v_mfma_f32_32x32x8_bf16 v[64:79], v[218:219], v[186:187], v[64:79]// 000000005754: D3E00040 050375DA
	v_mul_f32_e32 v159, v20, v159                              // 00000000575C: 0B3F3F14
	v_perm_b32 v80, v81, v80, s49                              // 000000005760: D1ED0050 00C6A151
	v_perm_b32 v81, v83, v82, s49                              // 000000005768: D1ED0051 00C6A553
	v_perm_b32 v82, v85, v84, s49                              // 000000005770: D1ED0052 00C6A955
	v_perm_b32 v83, v87, v86, s49                              // 000000005778: D1ED0053 00C6AD57
	v_perm_b32 v84, v89, v88, s49                              // 000000005780: D1ED0054 00C6B159
	v_perm_b32 v85, v91, v90, s49                              // 000000005788: D1ED0055 00C6B55B
	v_mfma_f32_32x32x8_bf16 v[64:79], v[220:221], v[188:189], v[64:79]// 000000005790: D3E00040 050379DC
	v_perm_b32 v86, v93, v92, s49                              // 000000005798: D1ED0056 00C6B95D
	v_perm_b32 v87, v95, v94, s49                              // 0000000057A0: D1ED0057 00C6BD5F
	v_mfma_f32_32x32x8_bf16 v[64:79], v[222:223], v[190:191], v[64:79]// 0000000057A8: D3E00040 05037DDE
	s_barrier                                                  // 0000000057B0: BF8A0000
	s_cmp_lt_i32 s52, s54                                      // 0000000057B4: BF043634
	s_cbranch_scc1 label_0972                                  // 0000000057B8: BF850043
	s_sub_i32 s40, s7, s52                                     // 0000000057BC: 81A83407
	v_sub_i32 v16, s40, v30                                    // 0000000057C0: D29D0010 00023C28
	v_cmp_lt_i32_e64 s[72:73], 0, v16                          // 0000000057C8: D0C10048 00022080
	v_cmp_lt_i32_e64 s[74:75], 1, v16                          // 0000000057D0: D0C1004A 00022081
	v_cndmask_b32_e64 v64, v31, v64, s[72:73]                  // 0000000057D8: D1000040 0122811F
	v_cndmask_b32_e64 v65, v31, v65, s[74:75]                  // 0000000057E0: D1000041 012A831F
	v_cmp_lt_i32_e64 s[72:73], 2, v16                          // 0000000057E8: D0C10048 00022082
	v_cmp_lt_i32_e64 s[74:75], 3, v16                          // 0000000057F0: D0C1004A 00022083
	v_cndmask_b32_e64 v66, v31, v66, s[72:73]                  // 0000000057F8: D1000042 0122851F
	v_cndmask_b32_e64 v67, v31, v67, s[74:75]                  // 000000005800: D1000043 012A871F
	v_cmp_lt_i32_e64 s[72:73], 8, v16                          // 000000005808: D0C10048 00022088
	v_cmp_lt_i32_e64 s[74:75], 9, v16                          // 000000005810: D0C1004A 00022089
	v_cndmask_b32_e64 v68, v31, v68, s[72:73]                  // 000000005818: D1000044 0122891F
	v_cndmask_b32_e64 v69, v31, v69, s[74:75]                  // 000000005820: D1000045 012A8B1F
	v_cmp_lt_i32_e64 s[72:73], 10, v16                         // 000000005828: D0C10048 0002208A
	v_cmp_lt_i32_e64 s[74:75], 11, v16                         // 000000005830: D0C1004A 0002208B
	v_cndmask_b32_e64 v70, v31, v70, s[72:73]                  // 000000005838: D1000046 01228D1F
	v_cndmask_b32_e64 v71, v31, v71, s[74:75]                  // 000000005840: D1000047 012A8F1F
	v_cmp_lt_i32_e64 s[72:73], 16, v16                         // 000000005848: D0C10048 00022090
	v_cmp_lt_i32_e64 s[74:75], 17, v16                         // 000000005850: D0C1004A 00022091
	v_cndmask_b32_e64 v72, v31, v72, s[72:73]                  // 000000005858: D1000048 0122911F
	v_cndmask_b32_e64 v73, v31, v73, s[74:75]                  // 000000005860: D1000049 012A931F
	v_cmp_lt_i32_e64 s[72:73], 18, v16                         // 000000005868: D0C10048 00022092
	v_cmp_lt_i32_e64 s[74:75], 19, v16                         // 000000005870: D0C1004A 00022093
	v_cndmask_b32_e64 v74, v31, v74, s[72:73]                  // 000000005878: D100004A 0122951F
	v_cndmask_b32_e64 v75, v31, v75, s[74:75]                  // 000000005880: D100004B 012A971F
	v_cmp_lt_i32_e64 s[72:73], 24, v16                         // 000000005888: D0C10048 00022098
	v_cmp_lt_i32_e64 s[74:75], 25, v16                         // 000000005890: D0C1004A 00022099
	v_cndmask_b32_e64 v76, v31, v76, s[72:73]                  // 000000005898: D100004C 0122991F
	v_cndmask_b32_e64 v77, v31, v77, s[74:75]                  // 0000000058A0: D100004D 012A9B1F
	v_cmp_lt_i32_e64 s[72:73], 26, v16                         // 0000000058A8: D0C10048 0002209A
	v_cmp_lt_i32_e64 s[74:75], 27, v16                         // 0000000058B0: D0C1004A 0002209B
	v_cndmask_b32_e64 v78, v31, v78, s[72:73]                  // 0000000058B8: D100004E 01229D1F
	v_cndmask_b32_e64 v79, v31, v79, s[74:75]                  // 0000000058C0: D100004F 012A9F1F

00000000000058c8 <label_0972>:
	s_nop 0                                                    // 0000000058C8: BF800000
	s_nop 0                                                    // 0000000058CC: BF800000
	s_nop 14                                                   // 0000000058D0: BF80000E
	s_mov_b32 m0, s68                                          // 0000000058D4: BEFC0044
	ds_read_b64 v[192:193], v13 offset:17408                   // 0000000058D8: D8EC4400 C000000D
	ds_read_b64 v[194:195], v13 offset:18432                   // 0000000058E0: D8EC4800 C200000D
	ds_read_b64 v[196:197], v13 offset:19456                   // 0000000058E8: D8EC4C00 C400000D
	ds_read_b64 v[198:199], v13 offset:20480                   // 0000000058F0: D8EC5000 C600000D
	ds_read_b64 v[200:201], v13 offset:17536                   // 0000000058F8: D8EC4480 C800000D
	ds_read_b64 v[202:203], v13 offset:18560                   // 000000005900: D8EC4880 CA00000D
	ds_read_b64 v[204:205], v13 offset:19584                   // 000000005908: D8EC4C80 CC00000D
	ds_read_b64 v[206:207], v13 offset:20608                   // 000000005910: D8EC5080 CE00000D
	s_nop 15                                                   // 000000005918: BF80000F
	s_nop 15                                                   // 00000000591C: BF80000F
	buffer_load_dword v4, s[12:15], s60 offen lds              // 000000005920: E0511000 3C030004
	s_add_u32 m0, 0x880, m0                                    // 000000005928: 807C7CFF 00000880
	ds_read_b64 v[208:209], v13 offset:17664                   // 000000005930: D8EC4500 D000000D
	ds_read_b64 v[210:211], v13 offset:18688                   // 000000005938: D8EC4900 D200000D
	ds_read_b64 v[212:213], v13 offset:19712                   // 000000005940: D8EC4D00 D400000D
	ds_read_b64 v[214:215], v13 offset:20736                   // 000000005948: D8EC5100 D600000D
	buffer_load_dword v5, s[12:15], s60 offen lds              // 000000005950: E0511000 3C030005
	s_add_u32 m0, 0x880, m0                                    // 000000005958: 807C7CFF 00000880
	ds_read_b64 v[216:217], v13 offset:17792                   // 000000005960: D8EC4580 D800000D
	ds_read_b64 v[218:219], v13 offset:18816                   // 000000005968: D8EC4980 DA00000D
	ds_read_b64 v[220:221], v13 offset:19840                   // 000000005970: D8EC4D80 DC00000D
	ds_read_b64 v[222:223], v13 offset:20864                   // 000000005978: D8EC5180 DE00000D
	buffer_load_dword v6, s[12:15], s60 offen lds              // 000000005980: E0511000 3C030006
	s_add_u32 m0, 0x880, m0                                    // 000000005988: 807C7CFF 00000880
	buffer_load_dword v7, s[12:15], s60 offen lds              // 000000005990: E0511000 3C030007
	s_add_u32 m0, 0x880, m0                                    // 000000005998: 807C7CFF 00000880
	s_add_i32 s60, s43, s60                                    // 0000000059A0: 813C3C2B
	s_add_u32 s40, 0x80, s39                                   // 0000000059A4: 802827FF 00000080
	s_cmp_lt_u32 s40, s38                                      // 0000000059AC: BF0A2628
	s_cselect_b32 s43, s43, 0                                  // 0000000059B0: 852B802B
	s_add_i32 s52, s52, s53                                    // 0000000059B4: 81343534
	s_addk_i32 s39, 0x20                                       // 0000000059B8: B7270020
	s_cmp_lt_i32 s39, s38                                      // 0000000059BC: BF042627
	s_waitcnt vmcnt(8) lgkmcnt(0)                              // 0000000059C0: BF8C0078
	s_barrier                                                  // 0000000059C4: BF8A0000
	v_mfma_f32_32x32x8_bf16 v[96:111], v[192:193], v[80:81], v[96:111]// 0000000059C8: D3E00060 0582A1C0
	v_max3_f32 v25, v64, v65, v28                              // 0000000059D0: D1D30019 04728340
	v_max3_f32 v25, v66, v67, v25                              // 0000000059D8: D1D30019 04668742
	v_max3_f32 v25, v68, v69, v25                              // 0000000059E0: D1D30019 04668B44
	v_max3_f32 v25, v70, v71, v25                              // 0000000059E8: D1D30019 04668F46
	v_max3_f32 v25, v72, v73, v25                              // 0000000059F0: D1D30019 04669348
	v_max3_f32 v25, v74, v75, v25                              // 0000000059F8: D1D30019 0466974A
	v_max3_f32 v25, v76, v77, v25                              // 000000005A00: D1D30019 04669B4C
	v_mfma_f32_32x32x8_bf16 v[96:111], v[194:195], v[82:83], v[96:111]// 000000005A08: D3E00060 0582A5C2
	v_max3_f32 v25, v78, v79, v25                              // 000000005A10: D1D30019 04669F4E
	ds_permute_b32 v24, v32, v25                               // 000000005A18: D87C0000 18001920
	v_mfma_f32_32x32x8_bf16 v[96:111], v[196:197], v[84:85], v[96:111]// 000000005A20: D3E00060 0582A9C4
	v_nop                                                      // 000000005A28: 7E000000
	s_nop 0                                                    // 000000005A2C: BF800000
	v_mfma_f32_32x32x8_bf16 v[96:111], v[198:199], v[86:87], v[96:111]// 000000005A30: D3E00060 0582ADC6
	v_nop                                                      // 000000005A38: 7E000000
	v_mfma_f32_32x32x8_bf16 v[112:127], v[200:201], v[80:81], v[112:127]// 000000005A3C: D3E00070 05C2A1C8
	s_waitcnt lgkmcnt(0)                                       // 000000005A44: BF8CC07F
	v_max_f32_e32 v25, v24, v25                                // 000000005A48: 16323318
	v_sub_f32_e32 v20, v28, v25                                // 000000005A4C: 0428331C
	v_mov_b32_e32 v28, v25                                     // 000000005A50: 7E380319
	v_mul_f32_e32 v27, s56, v25                                // 000000005A54: 0A363238
	v_mul_f32_e32 v20, s56, v20                                // 000000005A58: 0A282838
	v_mfma_f32_32x32x8_bf16 v[112:127], v[202:203], v[82:83], v[112:127]// 000000005A5C: D3E00070 05C2A5CA
	v_exp_f32_e32 v20, v20                                     // 000000005A64: 7E284114
	v_fma_f32 v64, v64, s56, -v27                              // 000000005A68: D1CB0040 846C7140
	v_fma_f32 v65, v65, s56, -v27                              // 000000005A70: D1CB0041 846C7141
	v_fma_f32 v66, v66, s56, -v27                              // 000000005A78: D1CB0042 846C7142
	v_mfma_f32_32x32x8_bf16 v[112:127], v[204:205], v[84:85], v[112:127]// 000000005A80: D3E00070 05C2A9CC
	v_fma_f32 v67, v67, s56, -v27                              // 000000005A88: D1CB0043 846C7143
	v_fma_f32 v68, v68, s56, -v27                              // 000000005A90: D1CB0044 846C7144
	v_fma_f32 v69, v69, s56, -v27                              // 000000005A98: D1CB0045 846C7145
	v_fma_f32 v70, v70, s56, -v27                              // 000000005AA0: D1CB0046 846C7146
	v_fma_f32 v71, v71, s56, -v27                              // 000000005AA8: D1CB0047 846C7147
	v_fma_f32 v72, v72, s56, -v27                              // 000000005AB0: D1CB0048 846C7148
	v_fma_f32 v73, v73, s56, -v27                              // 000000005AB8: D1CB0049 846C7149
	v_mfma_f32_32x32x8_bf16 v[112:127], v[206:207], v[86:87], v[112:127]// 000000005AC0: D3E00070 05C2ADCE
	v_fma_f32 v74, v74, s56, -v27                              // 000000005AC8: D1CB004A 846C714A
	v_fma_f32 v75, v75, s56, -v27                              // 000000005AD0: D1CB004B 846C714B
	v_fma_f32 v76, v76, s56, -v27                              // 000000005AD8: D1CB004C 846C714C
	v_fma_f32 v77, v77, s56, -v27                              // 000000005AE0: D1CB004D 846C714D
	v_fma_f32 v78, v78, s56, -v27                              // 000000005AE8: D1CB004E 846C714E
	v_fma_f32 v79, v79, s56, -v27                              // 000000005AF0: D1CB004F 846C714F
	v_exp_f32_e32 v64, v64                                     // 000000005AF8: 7E804140
	v_mfma_f32_32x32x8_bf16 v[128:143], v[208:209], v[80:81], v[128:143]// 000000005AFC: D3E00080 0602A1D0
	v_exp_f32_e32 v65, v65                                     // 000000005B04: 7E824141
	v_exp_f32_e32 v66, v66                                     // 000000005B08: 7E844142
	v_mfma_f32_32x32x8_bf16 v[128:143], v[210:211], v[82:83], v[128:143]// 000000005B0C: D3E00080 0602A5D2
	v_exp_f32_e32 v67, v67                                     // 000000005B14: 7E864143
	v_exp_f32_e32 v68, v68                                     // 000000005B18: 7E884144
	v_mfma_f32_32x32x8_bf16 v[128:143], v[212:213], v[84:85], v[128:143]// 000000005B1C: D3E00080 0602A9D4
	v_exp_f32_e32 v69, v69                                     // 000000005B24: 7E8A4145
	v_exp_f32_e32 v70, v70                                     // 000000005B28: 7E8C4146
	v_mfma_f32_32x32x8_bf16 v[128:143], v[214:215], v[86:87], v[128:143]// 000000005B2C: D3E00080 0602ADD6
	v_exp_f32_e32 v71, v71                                     // 000000005B34: 7E8E4147
	v_exp_f32_e32 v72, v72                                     // 000000005B38: 7E904148
	v_mfma_f32_32x32x8_bf16 v[144:159], v[216:217], v[80:81], v[144:159]// 000000005B3C: D3E00090 0642A1D8
	v_exp_f32_e32 v73, v73                                     // 000000005B44: 7E924149
	v_exp_f32_e32 v74, v74                                     // 000000005B48: 7E94414A
	v_mfma_f32_32x32x8_bf16 v[144:159], v[218:219], v[82:83], v[144:159]// 000000005B4C: D3E00090 0642A5DA
	v_exp_f32_e32 v75, v75                                     // 000000005B54: 7E96414B
	v_exp_f32_e32 v76, v76                                     // 000000005B58: 7E98414C
	v_mfma_f32_32x32x8_bf16 v[144:159], v[220:221], v[84:85], v[144:159]// 000000005B5C: D3E00090 0642A9DC
	v_exp_f32_e32 v77, v77                                     // 000000005B64: 7E9A414D
	v_exp_f32_e32 v78, v78                                     // 000000005B68: 7E9C414E
	v_mfma_f32_32x32x8_bf16 v[144:159], v[222:223], v[86:87], v[144:159]// 000000005B6C: D3E00090 0642ADDE
	v_nop                                                      // 000000005B74: 7E000000
	s_cbranch_scc0 label_0A20                                  // 000000005B78: BF840001
	s_branch label_06D7                                        // 000000005B7C: BF82FCB7

0000000000005b80 <label_0A20>:
	s_add_u32 s40, s38, 31                                     // 000000005B80: 80289F26
	s_lshr_b32 s40, s40, 5                                     // 000000005B84: 8F288528
	s_and_b32 s40, 1, s40                                      // 000000005B88: 86282881
	s_cmp_lt_i32 s40, 1                                        // 000000005B8C: BF048128
	s_cbranch_scc0 label_0AD9                                  // 000000005B90: BF8400B4
	s_waitcnt vmcnt(4)                                         // 000000005B94: BF8C0F74
	s_barrier                                                  // 000000005B98: BF8A0000
	v_perm_b32 v232, v229, v228, s50                           // 000000005B9C: D1ED00E8 00CBC9E5
	v_perm_b32 v234, v229, v228, s49                           // 000000005BA4: D1ED00EA 00C7C9E5
	v_perm_b32 v233, v231, v230, s50                           // 000000005BAC: D1ED00E9 00CBCDE7
	v_perm_b32 v235, v231, v230, s49                           // 000000005BB4: D1ED00EB 00C7CDE7
	ds_write_b64 v14, v[232:233] offset:17408                  // 000000005BBC: D89A4400 0000E80E
	ds_write_b64 v14, v[234:235] offset:21568                  // 000000005BC4: D89A5440 0000EA0E
	s_waitcnt lgkmcnt(0)                                       // 000000005BCC: BF8CC07F
	s_barrier                                                  // 000000005BD0: BF8A0000
	ds_read_b64 v[192:193], v13 offset:17408                   // 000000005BD4: D8EC4400 C000000D
	ds_read_b64 v[194:195], v13 offset:18432                   // 000000005BDC: D8EC4800 C200000D
	ds_read_b64 v[196:197], v13 offset:19456                   // 000000005BE4: D8EC4C00 C400000D
	ds_read_b64 v[198:199], v13 offset:20480                   // 000000005BEC: D8EC5000 C600000D
	ds_read_b64 v[200:201], v13 offset:17536                   // 000000005BF4: D8EC4480 C800000D
	ds_read_b64 v[202:203], v13 offset:18560                   // 000000005BFC: D8EC4880 CA00000D
	ds_read_b64 v[204:205], v13 offset:19584                   // 000000005C04: D8EC4C80 CC00000D
	ds_read_b64 v[206:207], v13 offset:20608                   // 000000005C0C: D8EC5080 CE00000D
	ds_read_b64 v[208:209], v13 offset:17664                   // 000000005C14: D8EC4500 D000000D
	ds_read_b64 v[210:211], v13 offset:18688                   // 000000005C1C: D8EC4900 D200000D
	ds_read_b64 v[212:213], v13 offset:19712                   // 000000005C24: D8EC4D00 D400000D
	ds_read_b64 v[214:215], v13 offset:20736                   // 000000005C2C: D8EC5100 D600000D
	ds_read_b64 v[216:217], v13 offset:17792                   // 000000005C34: D8EC4580 D800000D
	ds_read_b64 v[218:219], v13 offset:18816                   // 000000005C3C: D8EC4980 DA00000D
	ds_read_b64 v[220:221], v13 offset:19840                   // 000000005C44: D8EC4D80 DC00000D
	ds_read_b64 v[222:223], v13 offset:20864                   // 000000005C4C: D8EC5180 DE00000D
	v_exp_f32_e32 v95, v95                                     // 000000005C54: 7EBE415F
	v_mul_f32_e32 v22, v20, v22                                // 000000005C58: 0A2C2D14
	v_add_f32_e32 v38, v81, v80                                // 000000005C5C: 024CA151
	v_add_f32_e32 v38, v82, v38                                // 000000005C60: 024C4D52
	v_add_f32_e32 v38, v83, v38                                // 000000005C64: 024C4D53
	v_add_f32_e32 v38, v84, v38                                // 000000005C68: 024C4D54
	v_add_f32_e32 v38, v85, v38                                // 000000005C6C: 024C4D55
	v_add_f32_e32 v38, v86, v38                                // 000000005C70: 024C4D56
	v_add_f32_e32 v38, v87, v38                                // 000000005C74: 024C4D57
	v_add_f32_e32 v38, v88, v38                                // 000000005C78: 024C4D58
	v_add_f32_e32 v38, v89, v38                                // 000000005C7C: 024C4D59
	v_add_f32_e32 v38, v90, v38                                // 000000005C80: 024C4D5A
	v_add_f32_e32 v38, v91, v38                                // 000000005C84: 024C4D5B
	v_add_f32_e32 v38, v92, v38                                // 000000005C88: 024C4D5C
	v_add_f32_e32 v38, v93, v38                                // 000000005C8C: 024C4D5D
	v_add_f32_e32 v38, v94, v38                                // 000000005C90: 024C4D5E
	v_add_f32_e32 v38, v95, v38                                // 000000005C94: 024C4D5F
	v_add_f32_e32 v22, v38, v22                                // 000000005C98: 022C2D26
	v_mul_f32_e32 v96, v20, v96                                // 000000005C9C: 0AC0C114
	v_mul_f32_e32 v97, v20, v97                                // 000000005CA0: 0AC2C314
	v_mul_f32_e32 v98, v20, v98                                // 000000005CA4: 0AC4C514
	v_mul_f32_e32 v99, v20, v99                                // 000000005CA8: 0AC6C714
	v_mul_f32_e32 v100, v20, v100                              // 000000005CAC: 0AC8C914
	v_mul_f32_e32 v101, v20, v101                              // 000000005CB0: 0ACACB14
	v_mul_f32_e32 v102, v20, v102                              // 000000005CB4: 0ACCCD14
	v_mul_f32_e32 v103, v20, v103                              // 000000005CB8: 0ACECF14
	v_mul_f32_e32 v104, v20, v104                              // 000000005CBC: 0AD0D114
	v_mul_f32_e32 v105, v20, v105                              // 000000005CC0: 0AD2D314
	v_mul_f32_e32 v106, v20, v106                              // 000000005CC4: 0AD4D514
	v_mul_f32_e32 v107, v20, v107                              // 000000005CC8: 0AD6D714
	v_mul_f32_e32 v108, v20, v108                              // 000000005CCC: 0AD8D914
	v_mul_f32_e32 v109, v20, v109                              // 000000005CD0: 0ADADB14
	v_mul_f32_e32 v110, v20, v110                              // 000000005CD4: 0ADCDD14
	v_mul_f32_e32 v111, v20, v111                              // 000000005CD8: 0ADEDF14
	v_mul_f32_e32 v112, v20, v112                              // 000000005CDC: 0AE0E114
	v_mul_f32_e32 v113, v20, v113                              // 000000005CE0: 0AE2E314
	v_mul_f32_e32 v114, v20, v114                              // 000000005CE4: 0AE4E514
	v_mul_f32_e32 v115, v20, v115                              // 000000005CE8: 0AE6E714
	v_mul_f32_e32 v116, v20, v116                              // 000000005CEC: 0AE8E914
	v_mul_f32_e32 v117, v20, v117                              // 000000005CF0: 0AEAEB14
	v_mul_f32_e32 v118, v20, v118                              // 000000005CF4: 0AECED14
	v_mul_f32_e32 v119, v20, v119                              // 000000005CF8: 0AEEEF14
	v_mul_f32_e32 v120, v20, v120                              // 000000005CFC: 0AF0F114
	v_mul_f32_e32 v121, v20, v121                              // 000000005D00: 0AF2F314
	v_mul_f32_e32 v122, v20, v122                              // 000000005D04: 0AF4F514
	v_mul_f32_e32 v123, v20, v123                              // 000000005D08: 0AF6F714
	v_mul_f32_e32 v124, v20, v124                              // 000000005D0C: 0AF8F914
	v_mul_f32_e32 v125, v20, v125                              // 000000005D10: 0AFAFB14
	v_mul_f32_e32 v126, v20, v126                              // 000000005D14: 0AFCFD14
	v_mul_f32_e32 v127, v20, v127                              // 000000005D18: 0AFEFF14
	v_mul_f32_e32 v128, v20, v128                              // 000000005D1C: 0B010114
	v_mul_f32_e32 v129, v20, v129                              // 000000005D20: 0B030314
	v_mul_f32_e32 v130, v20, v130                              // 000000005D24: 0B050514
	v_mul_f32_e32 v131, v20, v131                              // 000000005D28: 0B070714
	v_mul_f32_e32 v132, v20, v132                              // 000000005D2C: 0B090914
	v_mul_f32_e32 v133, v20, v133                              // 000000005D30: 0B0B0B14
	v_mul_f32_e32 v134, v20, v134                              // 000000005D34: 0B0D0D14
	v_mul_f32_e32 v135, v20, v135                              // 000000005D38: 0B0F0F14
	v_mul_f32_e32 v136, v20, v136                              // 000000005D3C: 0B111114
	v_mul_f32_e32 v137, v20, v137                              // 000000005D40: 0B131314
	v_mul_f32_e32 v138, v20, v138                              // 000000005D44: 0B151514
	v_mul_f32_e32 v139, v20, v139                              // 000000005D48: 0B171714
	v_mul_f32_e32 v140, v20, v140                              // 000000005D4C: 0B191914
	v_mul_f32_e32 v141, v20, v141                              // 000000005D50: 0B1B1B14
	v_mul_f32_e32 v142, v20, v142                              // 000000005D54: 0B1D1D14
	v_mul_f32_e32 v143, v20, v143                              // 000000005D58: 0B1F1F14
	v_mul_f32_e32 v144, v20, v144                              // 000000005D5C: 0B212114
	v_mul_f32_e32 v145, v20, v145                              // 000000005D60: 0B232314
	v_mul_f32_e32 v146, v20, v146                              // 000000005D64: 0B252514
	v_mul_f32_e32 v147, v20, v147                              // 000000005D68: 0B272714
	v_mul_f32_e32 v148, v20, v148                              // 000000005D6C: 0B292914
	v_mul_f32_e32 v149, v20, v149                              // 000000005D70: 0B2B2B14
	v_mul_f32_e32 v150, v20, v150                              // 000000005D74: 0B2D2D14
	v_mul_f32_e32 v151, v20, v151                              // 000000005D78: 0B2F2F14
	v_mul_f32_e32 v152, v20, v152                              // 000000005D7C: 0B313114
	v_mul_f32_e32 v153, v20, v153                              // 000000005D80: 0B333314
	v_mul_f32_e32 v154, v20, v154                              // 000000005D84: 0B353514
	v_mul_f32_e32 v155, v20, v155                              // 000000005D88: 0B373714
	v_mul_f32_e32 v156, v20, v156                              // 000000005D8C: 0B393914
	v_mul_f32_e32 v157, v20, v157                              // 000000005D90: 0B3B3B14
	v_mul_f32_e32 v158, v20, v158                              // 000000005D94: 0B3D3D14
	v_mul_f32_e32 v159, v20, v159                              // 000000005D98: 0B3F3F14
	v_perm_b32 v80, v81, v80, s49                              // 000000005D9C: D1ED0050 00C6A151
	v_perm_b32 v81, v83, v82, s49                              // 000000005DA4: D1ED0051 00C6A553
	v_perm_b32 v82, v85, v84, s49                              // 000000005DAC: D1ED0052 00C6A955
	v_perm_b32 v83, v87, v86, s49                              // 000000005DB4: D1ED0053 00C6AD57
	v_perm_b32 v84, v89, v88, s49                              // 000000005DBC: D1ED0054 00C6B159
	v_perm_b32 v85, v91, v90, s49                              // 000000005DC4: D1ED0055 00C6B55B
	v_perm_b32 v86, v93, v92, s49                              // 000000005DCC: D1ED0056 00C6B95D
	v_perm_b32 v87, v95, v94, s49                              // 000000005DD4: D1ED0057 00C6BD5F
	s_waitcnt lgkmcnt(0)                                       // 000000005DDC: BF8CC07F
	v_mfma_f32_32x32x8_bf16 v[96:111], v[192:193], v[80:81], v[96:111]// 000000005DE0: D3E00060 0582A1C0
	v_mfma_f32_32x32x8_bf16 v[96:111], v[194:195], v[82:83], v[96:111]// 000000005DE8: D3E00060 0582A5C2
	v_mfma_f32_32x32x8_bf16 v[96:111], v[196:197], v[84:85], v[96:111]// 000000005DF0: D3E00060 0582A9C4
	v_mfma_f32_32x32x8_bf16 v[96:111], v[198:199], v[86:87], v[96:111]// 000000005DF8: D3E00060 0582ADC6
	v_mfma_f32_32x32x8_bf16 v[112:127], v[200:201], v[80:81], v[112:127]// 000000005E00: D3E00070 05C2A1C8
	v_mfma_f32_32x32x8_bf16 v[112:127], v[202:203], v[82:83], v[112:127]// 000000005E08: D3E00070 05C2A5CA
	v_mfma_f32_32x32x8_bf16 v[112:127], v[204:205], v[84:85], v[112:127]// 000000005E10: D3E00070 05C2A9CC
	v_mfma_f32_32x32x8_bf16 v[112:127], v[206:207], v[86:87], v[112:127]// 000000005E18: D3E00070 05C2ADCE
	v_mfma_f32_32x32x8_bf16 v[128:143], v[208:209], v[80:81], v[128:143]// 000000005E20: D3E00080 0602A1D0
	v_mfma_f32_32x32x8_bf16 v[128:143], v[210:211], v[82:83], v[128:143]// 000000005E28: D3E00080 0602A5D2
	v_mfma_f32_32x32x8_bf16 v[128:143], v[212:213], v[84:85], v[128:143]// 000000005E30: D3E00080 0602A9D4
	v_mfma_f32_32x32x8_bf16 v[128:143], v[214:215], v[86:87], v[128:143]// 000000005E38: D3E00080 0602ADD6
	v_mfma_f32_32x32x8_bf16 v[144:159], v[216:217], v[80:81], v[144:159]// 000000005E40: D3E00090 0642A1D8
	v_mfma_f32_32x32x8_bf16 v[144:159], v[218:219], v[82:83], v[144:159]// 000000005E48: D3E00090 0642A5DA
	v_mfma_f32_32x32x8_bf16 v[144:159], v[220:221], v[84:85], v[144:159]// 000000005E50: D3E00090 0642A9DC
	v_mfma_f32_32x32x8_bf16 v[144:159], v[222:223], v[86:87], v[144:159]// 000000005E58: D3E00090 0642ADDE
	s_branch label_0B8C                                        // 000000005E60: BF8200B3

0000000000005e64 <label_0AD9>:
	s_waitcnt vmcnt(4)                                         // 000000005E64: BF8C0F74
	s_barrier                                                  // 000000005E68: BF8A0000
	v_perm_b32 v232, v225, v224, s50                           // 000000005E6C: D1ED00E8 00CBC1E1
	v_perm_b32 v234, v225, v224, s49                           // 000000005E74: D1ED00EA 00C7C1E1
	v_perm_b32 v233, v227, v226, s50                           // 000000005E7C: D1ED00E9 00CBC5E3
	v_perm_b32 v235, v227, v226, s49                           // 000000005E84: D1ED00EB 00C7C5E3
	ds_write_b64 v14, v[232:233] offset:17408                  // 000000005E8C: D89A4400 0000E80E
	ds_write_b64 v14, v[234:235] offset:21568                  // 000000005E94: D89A5440 0000EA0E
	s_waitcnt lgkmcnt(0)                                       // 000000005E9C: BF8CC07F
	s_barrier                                                  // 000000005EA0: BF8A0000
	ds_read_b64 v[192:193], v13 offset:17408                   // 000000005EA4: D8EC4400 C000000D
	ds_read_b64 v[194:195], v13 offset:18432                   // 000000005EAC: D8EC4800 C200000D
	ds_read_b64 v[196:197], v13 offset:19456                   // 000000005EB4: D8EC4C00 C400000D
	ds_read_b64 v[198:199], v13 offset:20480                   // 000000005EBC: D8EC5000 C600000D
	ds_read_b64 v[200:201], v13 offset:17536                   // 000000005EC4: D8EC4480 C800000D
	ds_read_b64 v[202:203], v13 offset:18560                   // 000000005ECC: D8EC4880 CA00000D
	ds_read_b64 v[204:205], v13 offset:19584                   // 000000005ED4: D8EC4C80 CC00000D
	ds_read_b64 v[206:207], v13 offset:20608                   // 000000005EDC: D8EC5080 CE00000D
	ds_read_b64 v[208:209], v13 offset:17664                   // 000000005EE4: D8EC4500 D000000D
	ds_read_b64 v[210:211], v13 offset:18688                   // 000000005EEC: D8EC4900 D200000D
	ds_read_b64 v[212:213], v13 offset:19712                   // 000000005EF4: D8EC4D00 D400000D
	ds_read_b64 v[214:215], v13 offset:20736                   // 000000005EFC: D8EC5100 D600000D
	ds_read_b64 v[216:217], v13 offset:17792                   // 000000005F04: D8EC4580 D800000D
	ds_read_b64 v[218:219], v13 offset:18816                   // 000000005F0C: D8EC4980 DA00000D
	ds_read_b64 v[220:221], v13 offset:19840                   // 000000005F14: D8EC4D80 DC00000D
	ds_read_b64 v[222:223], v13 offset:20864                   // 000000005F1C: D8EC5180 DE00000D
	v_exp_f32_e32 v79, v79                                     // 000000005F24: 7E9E414F
	v_mul_f32_e32 v22, v20, v22                                // 000000005F28: 0A2C2D14
	v_add_f32_e32 v38, v65, v64                                // 000000005F2C: 024C8141
	v_add_f32_e32 v38, v66, v38                                // 000000005F30: 024C4D42
	v_add_f32_e32 v38, v67, v38                                // 000000005F34: 024C4D43
	v_add_f32_e32 v38, v68, v38                                // 000000005F38: 024C4D44
	v_add_f32_e32 v38, v69, v38                                // 000000005F3C: 024C4D45
	v_add_f32_e32 v38, v70, v38                                // 000000005F40: 024C4D46
	v_add_f32_e32 v38, v71, v38                                // 000000005F44: 024C4D47
	v_add_f32_e32 v38, v72, v38                                // 000000005F48: 024C4D48
	v_add_f32_e32 v38, v73, v38                                // 000000005F4C: 024C4D49
	v_add_f32_e32 v38, v74, v38                                // 000000005F50: 024C4D4A
	v_add_f32_e32 v38, v75, v38                                // 000000005F54: 024C4D4B
	v_add_f32_e32 v38, v76, v38                                // 000000005F58: 024C4D4C
	v_add_f32_e32 v38, v77, v38                                // 000000005F5C: 024C4D4D
	v_add_f32_e32 v38, v78, v38                                // 000000005F60: 024C4D4E
	v_add_f32_e32 v38, v79, v38                                // 000000005F64: 024C4D4F
	v_add_f32_e32 v22, v38, v22                                // 000000005F68: 022C2D26
	v_mul_f32_e32 v96, v20, v96                                // 000000005F6C: 0AC0C114
	v_mul_f32_e32 v97, v20, v97                                // 000000005F70: 0AC2C314
	v_mul_f32_e32 v98, v20, v98                                // 000000005F74: 0AC4C514
	v_mul_f32_e32 v99, v20, v99                                // 000000005F78: 0AC6C714
	v_mul_f32_e32 v100, v20, v100                              // 000000005F7C: 0AC8C914
	v_mul_f32_e32 v101, v20, v101                              // 000000005F80: 0ACACB14
	v_mul_f32_e32 v102, v20, v102                              // 000000005F84: 0ACCCD14
	v_mul_f32_e32 v103, v20, v103                              // 000000005F88: 0ACECF14
	v_mul_f32_e32 v104, v20, v104                              // 000000005F8C: 0AD0D114
	v_mul_f32_e32 v105, v20, v105                              // 000000005F90: 0AD2D314
	v_mul_f32_e32 v106, v20, v106                              // 000000005F94: 0AD4D514
	v_mul_f32_e32 v107, v20, v107                              // 000000005F98: 0AD6D714
	v_mul_f32_e32 v108, v20, v108                              // 000000005F9C: 0AD8D914
	v_mul_f32_e32 v109, v20, v109                              // 000000005FA0: 0ADADB14
	v_mul_f32_e32 v110, v20, v110                              // 000000005FA4: 0ADCDD14
	v_mul_f32_e32 v111, v20, v111                              // 000000005FA8: 0ADEDF14
	v_mul_f32_e32 v112, v20, v112                              // 000000005FAC: 0AE0E114
	v_mul_f32_e32 v113, v20, v113                              // 000000005FB0: 0AE2E314
	v_mul_f32_e32 v114, v20, v114                              // 000000005FB4: 0AE4E514
	v_mul_f32_e32 v115, v20, v115                              // 000000005FB8: 0AE6E714
	v_mul_f32_e32 v116, v20, v116                              // 000000005FBC: 0AE8E914
	v_mul_f32_e32 v117, v20, v117                              // 000000005FC0: 0AEAEB14
	v_mul_f32_e32 v118, v20, v118                              // 000000005FC4: 0AECED14
	v_mul_f32_e32 v119, v20, v119                              // 000000005FC8: 0AEEEF14
	v_mul_f32_e32 v120, v20, v120                              // 000000005FCC: 0AF0F114
	v_mul_f32_e32 v121, v20, v121                              // 000000005FD0: 0AF2F314
	v_mul_f32_e32 v122, v20, v122                              // 000000005FD4: 0AF4F514
	v_mul_f32_e32 v123, v20, v123                              // 000000005FD8: 0AF6F714
	v_mul_f32_e32 v124, v20, v124                              // 000000005FDC: 0AF8F914
	v_mul_f32_e32 v125, v20, v125                              // 000000005FE0: 0AFAFB14
	v_mul_f32_e32 v126, v20, v126                              // 000000005FE4: 0AFCFD14
	v_mul_f32_e32 v127, v20, v127                              // 000000005FE8: 0AFEFF14
	v_mul_f32_e32 v128, v20, v128                              // 000000005FEC: 0B010114
	v_mul_f32_e32 v129, v20, v129                              // 000000005FF0: 0B030314
	v_mul_f32_e32 v130, v20, v130                              // 000000005FF4: 0B050514
	v_mul_f32_e32 v131, v20, v131                              // 000000005FF8: 0B070714
	v_mul_f32_e32 v132, v20, v132                              // 000000005FFC: 0B090914
	v_mul_f32_e32 v133, v20, v133                              // 000000006000: 0B0B0B14
	v_mul_f32_e32 v134, v20, v134                              // 000000006004: 0B0D0D14
	v_mul_f32_e32 v135, v20, v135                              // 000000006008: 0B0F0F14
	v_mul_f32_e32 v136, v20, v136                              // 00000000600C: 0B111114
	v_mul_f32_e32 v137, v20, v137                              // 000000006010: 0B131314
	v_mul_f32_e32 v138, v20, v138                              // 000000006014: 0B151514
	v_mul_f32_e32 v139, v20, v139                              // 000000006018: 0B171714
	v_mul_f32_e32 v140, v20, v140                              // 00000000601C: 0B191914
	v_mul_f32_e32 v141, v20, v141                              // 000000006020: 0B1B1B14
	v_mul_f32_e32 v142, v20, v142                              // 000000006024: 0B1D1D14
	v_mul_f32_e32 v143, v20, v143                              // 000000006028: 0B1F1F14
	v_mul_f32_e32 v144, v20, v144                              // 00000000602C: 0B212114
	v_mul_f32_e32 v145, v20, v145                              // 000000006030: 0B232314
	v_mul_f32_e32 v146, v20, v146                              // 000000006034: 0B252514
	v_mul_f32_e32 v147, v20, v147                              // 000000006038: 0B272714
	v_mul_f32_e32 v148, v20, v148                              // 00000000603C: 0B292914
	v_mul_f32_e32 v149, v20, v149                              // 000000006040: 0B2B2B14
	v_mul_f32_e32 v150, v20, v150                              // 000000006044: 0B2D2D14
	v_mul_f32_e32 v151, v20, v151                              // 000000006048: 0B2F2F14
	v_mul_f32_e32 v152, v20, v152                              // 00000000604C: 0B313114
	v_mul_f32_e32 v153, v20, v153                              // 000000006050: 0B333314
	v_mul_f32_e32 v154, v20, v154                              // 000000006054: 0B353514
	v_mul_f32_e32 v155, v20, v155                              // 000000006058: 0B373714
	v_mul_f32_e32 v156, v20, v156                              // 00000000605C: 0B393914
	v_mul_f32_e32 v157, v20, v157                              // 000000006060: 0B3B3B14
	v_mul_f32_e32 v158, v20, v158                              // 000000006064: 0B3D3D14
	v_mul_f32_e32 v159, v20, v159                              // 000000006068: 0B3F3F14
	v_perm_b32 v64, v65, v64, s49                              // 00000000606C: D1ED0040 00C68141
	v_perm_b32 v65, v67, v66, s49                              // 000000006074: D1ED0041 00C68543
	v_perm_b32 v66, v69, v68, s49                              // 00000000607C: D1ED0042 00C68945
	v_perm_b32 v67, v71, v70, s49                              // 000000006084: D1ED0043 00C68D47
	v_perm_b32 v68, v73, v72, s49                              // 00000000608C: D1ED0044 00C69149
	v_perm_b32 v69, v75, v74, s49                              // 000000006094: D1ED0045 00C6954B
	v_perm_b32 v70, v77, v76, s49                              // 00000000609C: D1ED0046 00C6994D
	v_perm_b32 v71, v79, v78, s49                              // 0000000060A4: D1ED0047 00C69D4F
	s_waitcnt lgkmcnt(0)                                       // 0000000060AC: BF8CC07F
	v_mfma_f32_32x32x8_bf16 v[96:111], v[192:193], v[64:65], v[96:111]// 0000000060B0: D3E00060 058281C0
	v_mfma_f32_32x32x8_bf16 v[96:111], v[194:195], v[66:67], v[96:111]// 0000000060B8: D3E00060 058285C2
	v_mfma_f32_32x32x8_bf16 v[96:111], v[196:197], v[68:69], v[96:111]// 0000000060C0: D3E00060 058289C4
	v_mfma_f32_32x32x8_bf16 v[96:111], v[198:199], v[70:71], v[96:111]// 0000000060C8: D3E00060 05828DC6
	v_mfma_f32_32x32x8_bf16 v[112:127], v[200:201], v[64:65], v[112:127]// 0000000060D0: D3E00070 05C281C8
	v_mfma_f32_32x32x8_bf16 v[112:127], v[202:203], v[66:67], v[112:127]// 0000000060D8: D3E00070 05C285CA
	v_mfma_f32_32x32x8_bf16 v[112:127], v[204:205], v[68:69], v[112:127]// 0000000060E0: D3E00070 05C289CC
	v_mfma_f32_32x32x8_bf16 v[112:127], v[206:207], v[70:71], v[112:127]// 0000000060E8: D3E00070 05C28DCE
	v_mfma_f32_32x32x8_bf16 v[128:143], v[208:209], v[64:65], v[128:143]// 0000000060F0: D3E00080 060281D0
	v_mfma_f32_32x32x8_bf16 v[128:143], v[210:211], v[66:67], v[128:143]// 0000000060F8: D3E00080 060285D2
	v_mfma_f32_32x32x8_bf16 v[128:143], v[212:213], v[68:69], v[128:143]// 000000006100: D3E00080 060289D4
	v_mfma_f32_32x32x8_bf16 v[128:143], v[214:215], v[70:71], v[128:143]// 000000006108: D3E00080 06028DD6
	v_mfma_f32_32x32x8_bf16 v[144:159], v[216:217], v[64:65], v[144:159]// 000000006110: D3E00090 064281D8
	v_mfma_f32_32x32x8_bf16 v[144:159], v[218:219], v[66:67], v[144:159]// 000000006118: D3E00090 064285DA
	v_mfma_f32_32x32x8_bf16 v[144:159], v[220:221], v[68:69], v[144:159]// 000000006120: D3E00090 064289DC
	v_mfma_f32_32x32x8_bf16 v[144:159], v[222:223], v[70:71], v[144:159]// 000000006128: D3E00090 06428DDE

0000000000006130 <label_0B8C>:
	v_cvt_f32_u32_e32 v16, s62                                 // 000000006130: 7E200C3E
	s_sub_i32 s40, 0, s62                                      // 000000006134: 81A83E80
	v_rcp_iflag_f32_e32 v16, v16                               // 000000006138: 7E204710
	s_nop 0                                                    // 00000000613C: BF800000
	v_mul_f32_e32 v16, 0x4f7ffffe, v16                         // 000000006140: 0A2020FF 4F7FFFFE
	v_cvt_u32_f32_e32 v16, v16                                 // 000000006148: 7E200F10
	v_mul_lo_u32 v17, s40, v16                                 // 00000000614C: D2850011 00022028
	v_mul_hi_u32 v17, v16, v17                                 // 000000006154: D2860011 00022310
	v_add_u32_e32 v16, v16, v17                                // 00000000615C: 68202310
	v_mul_hi_u32 v16, s63, v16                                 // 000000006160: D2860010 0002203F
	v_mul_lo_u32 v17, v16, s62                                 // 000000006168: D2850011 00007D10
	v_sub_u32_e32 v19, s63, v17                                // 000000006170: 6A26223F
	v_add_u32_e32 v18, 1, v16                                  // 000000006174: 68242081
	v_cmp_le_u32_e32 vcc, s62, v19                             // 000000006178: 7D96263E
	v_subrev_u32_e32 v17, s62, v19                             // 00000000617C: 6C22263E
	s_nop 0                                                    // 000000006180: BF800000
	v_cndmask_b32_e32 v16, v16, v18, vcc                       // 000000006184: 00202510
	v_cndmask_b32_e32 v19, v19, v17, vcc                       // 000000006188: 00262313
	v_add_u32_e32 v17, 1, v16                                  // 00000000618C: 68222081
	v_cmp_le_u32_e32 vcc, s62, v19                             // 000000006190: 7D96263E
	s_nop 1                                                    // 000000006194: BF800001
	v_cndmask_b32_e32 v19, v16, v17, vcc                       // 000000006198: 00262310
	s_nop 3                                                    // 00000000619C: BF800003
	v_readfirstlane_b32 s63, v19                               // 0000000061A0: 7E7E0513
	s_nop 3                                                    // 0000000061A4: BF800003
	s_mul_i32 s63, s63, s83                                    // 0000000061A8: 923F533F
	v_lshrrev_b32_e32 v16, 3, v0                               // 0000000061AC: 20200083
	v_mul_i32_i24_e32 v8, s83, v16                             // 0000000061B0: 0C102053
	v_and_b32_e32 v16, 7, v0                                   // 0000000061B4: 26200087
	v_mul_i32_i24_e32 v16, 16, v16                             // 0000000061B8: 0C202090
	v_add_u32_e32 v8, v16, v8                                  // 0000000061BC: 68101110
	s_mul_i32 s40, s5, s83                                     // 0000000061C0: 92285305
	s_mul_i32 s40, s40, 32                                     // 0000000061C4: 9228A028
	s_add_u32 s40, s63, s40                                    // 0000000061C8: 8028283F
	v_add_u32_e32 v8, s40, v8                                  // 0000000061CC: 68101028
	s_mul_i32 s40, s83, 8                                      // 0000000061D0: 92288853
	v_add_u32_e32 v9, s40, v8                                  // 0000000061D4: 68121028
	v_add_u32_e32 v10, s40, v9                                 // 0000000061D8: 68141228
	v_add_u32_e32 v11, s40, v10                                // 0000000061DC: 68161428
	s_mul_i32 s40, s2, 0x100                                   // 0000000061E0: 9228FF02 00000100
	v_and_b32_e32 v3, 31, v0                                   // 0000000061E8: 2606009F
	v_add_u32_e32 v3, s40, v3                                  // 0000000061EC: 68060628
	s_mul_i32 s40, s5, 32                                      // 0000000061F0: 9228A005
	v_add_u32_e32 v3, s40, v3                                  // 0000000061F4: 68060628
	v_lshlrev_b32_e32 v3, 2, v3                                // 0000000061F8: 24060682
	ds_permute_b32 v16, v32, v22                               // 0000000061FC: D87C0000 10001620
	s_waitcnt lgkmcnt(0)                                       // 000000006204: BF8CC07F
	v_add_f32_e32 v22, v16, v22                                // 000000006208: 022C2D10
	v_mul_f32_e64 v16, v28, s28                                // 00000000620C: D1050010 0000391C
	v_log_f32_e32 v17, v22                                     // 000000006214: 7E224316
	v_cmp_eq_f32_e64 s[40:41], v22, 0                          // 000000006218: D0420028 00010116
	s_nop 1                                                    // 000000006220: BF800001
	v_rcp_f32_e32 v22, v22                                     // 000000006224: 7E2C4516
	s_nop 1                                                    // 000000006228: BF800001
	v_cndmask_b32_e64 v22, v22, 0, s[40:41]                    // 00000000622C: D1000016 00A10116
	v_fma_f32 v2, v17, s45, v16                                // 000000006234: D1CB0002 04405B11
	v_mov_b32_e32 v23, v22                                     // 00000000623C: 7E2E0316
	v_lshrrev_b32_e32 v16, 5, v0                               // 000000006240: 20200085
	v_mul_i32_i24_e32 v35, 0x42, v16                           // 000000006244: 0C4620FF 00000042
	v_and_b32_e32 v16, 31, v0                                  // 00000000624C: 2620009F
	v_mul_i32_i24_e32 v16, 2, v16                              // 000000006250: 0C202082
	v_add_u32_e32 v35, v16, v35                                // 000000006254: 68464710
	s_mul_i32 s40, s5, 0x420                                   // 000000006258: 9228FF05 00000420
	v_add_u32_e32 v35, s40, v35                                // 000000006260: 68464628
	v_lshlrev_b32_e32 v35, 2, v35                              // 000000006264: 24464682
	v_lshrrev_b32_e32 v16, 3, v0                               // 000000006268: 20200083
	v_mul_i32_i24_e32 v34, 2, v16                              // 00000000626C: 0C442082
	v_and_b32_e32 v16, 7, v0                                   // 000000006270: 26200087
	v_mul_i32_i24_e32 v16, 0x84, v16                           // 000000006274: 0C2020FF 00000084
	v_add_u32_e32 v34, v16, v34                                // 00000000627C: 68444510
	s_mul_i32 s40, s5, 0x420                                   // 000000006280: 9228FF05 00000420
	v_add_u32_e32 v34, s40, v34                                // 000000006288: 68444428
	v_lshlrev_b32_e32 v34, 2, v34                              // 00000000628C: 24444482
	s_waitcnt vmcnt(0) expcnt(0) lgkmcnt(0)                    // 000000006290: BF8C0000
	s_barrier                                                  // 000000006294: BF8A0000
	v_pk_mul_f32 v[96:97], v[22:23], v[96:97]                  // 000000006298: D3B14060 1802C116
	v_pk_mul_f32 v[98:99], v[22:23], v[98:99]                  // 0000000062A0: D3B14062 1802C516
	v_pk_mul_f32 v[100:101], v[22:23], v[100:101]              // 0000000062A8: D3B14064 1802C916
	v_pk_mul_f32 v[102:103], v[22:23], v[102:103]              // 0000000062B0: D3B14066 1802CD16
	v_pk_mul_f32 v[104:105], v[22:23], v[104:105]              // 0000000062B8: D3B14068 1802D116
	v_pk_mul_f32 v[106:107], v[22:23], v[106:107]              // 0000000062C0: D3B1406A 1802D516
	v_pk_mul_f32 v[108:109], v[22:23], v[108:109]              // 0000000062C8: D3B1406C 1802D916
	v_pk_mul_f32 v[110:111], v[22:23], v[110:111]              // 0000000062D0: D3B1406E 1802DD16
	v_pk_mul_f32 v[112:113], v[22:23], v[112:113]              // 0000000062D8: D3B14070 1802E116
	v_pk_mul_f32 v[114:115], v[22:23], v[114:115]              // 0000000062E0: D3B14072 1802E516
	v_pk_mul_f32 v[116:117], v[22:23], v[116:117]              // 0000000062E8: D3B14074 1802E916
	v_pk_mul_f32 v[118:119], v[22:23], v[118:119]              // 0000000062F0: D3B14076 1802ED16
	v_pk_mul_f32 v[120:121], v[22:23], v[120:121]              // 0000000062F8: D3B14078 1802F116
	v_pk_mul_f32 v[122:123], v[22:23], v[122:123]              // 000000006300: D3B1407A 1802F516
	v_pk_mul_f32 v[124:125], v[22:23], v[124:125]              // 000000006308: D3B1407C 1802F916
	v_pk_mul_f32 v[126:127], v[22:23], v[126:127]              // 000000006310: D3B1407E 1802FD16
	v_perm_b32 v96, v97, v96, s49                              // 000000006318: D1ED0060 00C6C161
	v_perm_b32 v97, v99, v98, s49                              // 000000006320: D1ED0061 00C6C563
	v_perm_b32 v98, v101, v100, s49                            // 000000006328: D1ED0062 00C6C965
	v_perm_b32 v99, v103, v102, s49                            // 000000006330: D1ED0063 00C6CD67
	v_perm_b32 v100, v105, v104, s49                           // 000000006338: D1ED0064 00C6D169
	v_perm_b32 v101, v107, v106, s49                           // 000000006340: D1ED0065 00C6D56B
	v_perm_b32 v102, v109, v108, s49                           // 000000006348: D1ED0066 00C6D96D
	v_perm_b32 v103, v111, v110, s49                           // 000000006350: D1ED0067 00C6DD6F
	v_perm_b32 v104, v113, v112, s49                           // 000000006358: D1ED0068 00C6E171
	v_perm_b32 v105, v115, v114, s49                           // 000000006360: D1ED0069 00C6E573
	v_perm_b32 v106, v117, v116, s49                           // 000000006368: D1ED006A 00C6E975
	v_perm_b32 v107, v119, v118, s49                           // 000000006370: D1ED006B 00C6ED77
	v_perm_b32 v108, v121, v120, s49                           // 000000006378: D1ED006C 00C6F179
	v_perm_b32 v109, v123, v122, s49                           // 000000006380: D1ED006D 00C6F57B
	v_perm_b32 v110, v125, v124, s49                           // 000000006388: D1ED006E 00C6F97D
	v_perm_b32 v111, v127, v126, s49                           // 000000006390: D1ED006F 00C6FD7F
	ds_write_b64 v35, v[96:97]                                 // 000000006398: D89A0000 00006023
	ds_write_b64 v35, v[98:99] offset:528                      // 0000000063A0: D89A0210 00006223
	ds_write_b64 v35, v[100:101] offset:1056                   // 0000000063A8: D89A0420 00006423
	ds_write_b64 v35, v[102:103] offset:1584                   // 0000000063B0: D89A0630 00006623
	ds_write_b64 v35, v[104:105] offset:2112                   // 0000000063B8: D89A0840 00006823
	ds_write_b64 v35, v[106:107] offset:2640                   // 0000000063C0: D89A0A50 00006A23
	ds_write_b64 v35, v[108:109] offset:3168                   // 0000000063C8: D89A0C60 00006C23
	ds_write_b64 v35, v[110:111] offset:3696                   // 0000000063D0: D89A0E70 00006E23
	s_waitcnt vmcnt(0) expcnt(0) lgkmcnt(0)                    // 0000000063D8: BF8C0000
	ds_read_b64 v[96:97], v34                                  // 0000000063DC: D8EC0000 60000022
	ds_read_b64 v[98:99], v34 offset:264                       // 0000000063E4: D8EC0108 62000022
	ds_read_b64 v[100:101], v34 offset:64                      // 0000000063EC: D8EC0040 64000022
	ds_read_b64 v[102:103], v34 offset:328                     // 0000000063F4: D8EC0148 66000022
	ds_read_b64 v[104:105], v34 offset:128                     // 0000000063FC: D8EC0080 68000022
	ds_read_b64 v[106:107], v34 offset:392                     // 000000006404: D8EC0188 6A000022
	ds_read_b64 v[108:109], v34 offset:192                     // 00000000640C: D8EC00C0 6C000022
	ds_read_b64 v[110:111], v34 offset:456                     // 000000006414: D8EC01C8 6E000022
	s_waitcnt vmcnt(0) expcnt(0) lgkmcnt(0)                    // 00000000641C: BF8C0000
	buffer_store_dwordx4 v[96:99], v8, s[20:23], 0 offen       // 000000006420: E07C1000 80056008
	buffer_store_dwordx4 v[100:103], v9, s[20:23], 0 offen     // 000000006428: E07C1000 80056409
	buffer_store_dwordx4 v[104:107], v10, s[20:23], 0 offen    // 000000006430: E07C1000 8005680A
	buffer_store_dwordx4 v[108:111], v11, s[20:23], 0 offen    // 000000006438: E07C1000 80056C0B
	v_pk_mul_f32 v[128:129], v[22:23], v[128:129]              // 000000006440: D3B14080 18030116
	v_pk_mul_f32 v[130:131], v[22:23], v[130:131]              // 000000006448: D3B14082 18030516
	v_pk_mul_f32 v[132:133], v[22:23], v[132:133]              // 000000006450: D3B14084 18030916
	v_pk_mul_f32 v[134:135], v[22:23], v[134:135]              // 000000006458: D3B14086 18030D16
	v_pk_mul_f32 v[136:137], v[22:23], v[136:137]              // 000000006460: D3B14088 18031116
	v_pk_mul_f32 v[138:139], v[22:23], v[138:139]              // 000000006468: D3B1408A 18031516
	v_pk_mul_f32 v[140:141], v[22:23], v[140:141]              // 000000006470: D3B1408C 18031916
	v_pk_mul_f32 v[142:143], v[22:23], v[142:143]              // 000000006478: D3B1408E 18031D16
	v_pk_mul_f32 v[144:145], v[22:23], v[144:145]              // 000000006480: D3B14090 18032116
	v_pk_mul_f32 v[146:147], v[22:23], v[146:147]              // 000000006488: D3B14092 18032516
	v_pk_mul_f32 v[148:149], v[22:23], v[148:149]              // 000000006490: D3B14094 18032916
	v_pk_mul_f32 v[150:151], v[22:23], v[150:151]              // 000000006498: D3B14096 18032D16
	v_pk_mul_f32 v[152:153], v[22:23], v[152:153]              // 0000000064A0: D3B14098 18033116
	v_pk_mul_f32 v[154:155], v[22:23], v[154:155]              // 0000000064A8: D3B1409A 18033516
	v_pk_mul_f32 v[156:157], v[22:23], v[156:157]              // 0000000064B0: D3B1409C 18033916
	v_pk_mul_f32 v[158:159], v[22:23], v[158:159]              // 0000000064B8: D3B1409E 18033D16
	v_perm_b32 v128, v129, v128, s49                           // 0000000064C0: D1ED0080 00C70181
	v_perm_b32 v129, v131, v130, s49                           // 0000000064C8: D1ED0081 00C70583
	v_perm_b32 v130, v133, v132, s49                           // 0000000064D0: D1ED0082 00C70985
	v_perm_b32 v131, v135, v134, s49                           // 0000000064D8: D1ED0083 00C70D87
	v_perm_b32 v132, v137, v136, s49                           // 0000000064E0: D1ED0084 00C71189
	v_perm_b32 v133, v139, v138, s49                           // 0000000064E8: D1ED0085 00C7158B
	v_perm_b32 v134, v141, v140, s49                           // 0000000064F0: D1ED0086 00C7198D
	v_perm_b32 v135, v143, v142, s49                           // 0000000064F8: D1ED0087 00C71D8F
	v_perm_b32 v136, v145, v144, s49                           // 000000006500: D1ED0088 00C72191
	v_perm_b32 v137, v147, v146, s49                           // 000000006508: D1ED0089 00C72593
	v_perm_b32 v138, v149, v148, s49                           // 000000006510: D1ED008A 00C72995
	v_perm_b32 v139, v151, v150, s49                           // 000000006518: D1ED008B 00C72D97
	v_perm_b32 v140, v153, v152, s49                           // 000000006520: D1ED008C 00C73199
	v_perm_b32 v141, v155, v154, s49                           // 000000006528: D1ED008D 00C7359B
	v_perm_b32 v142, v157, v156, s49                           // 000000006530: D1ED008E 00C7399D
	v_perm_b32 v143, v159, v158, s49                           // 000000006538: D1ED008F 00C73D9F
	ds_write_b64 v35, v[128:129]                               // 000000006540: D89A0000 00008023
	ds_write_b64 v35, v[130:131] offset:528                    // 000000006548: D89A0210 00008223
	ds_write_b64 v35, v[132:133] offset:1056                   // 000000006550: D89A0420 00008423
	ds_write_b64 v35, v[134:135] offset:1584                   // 000000006558: D89A0630 00008623
	ds_write_b64 v35, v[136:137] offset:2112                   // 000000006560: D89A0840 00008823
	ds_write_b64 v35, v[138:139] offset:2640                   // 000000006568: D89A0A50 00008A23
	ds_write_b64 v35, v[140:141] offset:3168                   // 000000006570: D89A0C60 00008C23
	ds_write_b64 v35, v[142:143] offset:3696                   // 000000006578: D89A0E70 00008E23
	s_waitcnt vmcnt(0) expcnt(0) lgkmcnt(0)                    // 000000006580: BF8C0000
	ds_read_b64 v[128:129], v34                                // 000000006584: D8EC0000 80000022
	ds_read_b64 v[130:131], v34 offset:264                     // 00000000658C: D8EC0108 82000022
	ds_read_b64 v[132:133], v34 offset:64                      // 000000006594: D8EC0040 84000022
	ds_read_b64 v[134:135], v34 offset:328                     // 00000000659C: D8EC0148 86000022
	ds_read_b64 v[136:137], v34 offset:128                     // 0000000065A4: D8EC0080 88000022
	ds_read_b64 v[138:139], v34 offset:392                     // 0000000065AC: D8EC0188 8A000022
	ds_read_b64 v[140:141], v34 offset:192                     // 0000000065B4: D8EC00C0 8C000022
	ds_read_b64 v[142:143], v34 offset:456                     // 0000000065BC: D8EC01C8 8E000022
	s_waitcnt vmcnt(0) expcnt(0) lgkmcnt(0)                    // 0000000065C4: BF8C0000
	buffer_store_dwordx4 v[128:131], v8, s[20:23], 0 offen offset:128// 0000000065C8: E07C1080 80058008
	buffer_store_dwordx4 v[132:135], v9, s[20:23], 0 offen offset:128// 0000000065D0: E07C1080 80058409
	buffer_store_dwordx4 v[136:139], v10, s[20:23], 0 offen offset:128// 0000000065D8: E07C1080 8005880A
	buffer_store_dwordx4 v[140:143], v11, s[20:23], 0 offen offset:128// 0000000065E0: E07C1080 80058C0B
	s_cmp_eq_u32 s37, 0                                        // 0000000065E8: BF068025
	s_cbranch_scc1 label_0CC2                                  // 0000000065EC: BF850006
	v_cmp_ge_f32_e64 s[40:41], v2, v31                         // 0000000065F0: D0460028 00023F02
	v_cndmask_b32_e64 v2, v31, v2, s[40:41]                    // 0000000065F8: D1000002 00A2051F
	buffer_store_dword v2, v3, s[24:27], 0 offen               // 000000006600: E0701000 80060203

0000000000006608 <label_0CC2>:
	s_waitcnt vmcnt(0) expcnt(0) lgkmcnt(0)                    // 000000006608: BF8C0000
	s_endpgm                                                   // 00000000660C: BF810000
